;; amdgpu-corpus repo=ROCm/rocFFT kind=compiled arch=gfx1201 opt=O3
	.text
	.amdgcn_target "amdgcn-amd-amdhsa--gfx1201"
	.amdhsa_code_object_version 6
	.protected	fft_rtc_back_len182_factors_13_2_7_wgs_52_tpt_13_sp_op_CI_CI_unitstride_sbrr_R2C_dirReg ; -- Begin function fft_rtc_back_len182_factors_13_2_7_wgs_52_tpt_13_sp_op_CI_CI_unitstride_sbrr_R2C_dirReg
	.globl	fft_rtc_back_len182_factors_13_2_7_wgs_52_tpt_13_sp_op_CI_CI_unitstride_sbrr_R2C_dirReg
	.p2align	8
	.type	fft_rtc_back_len182_factors_13_2_7_wgs_52_tpt_13_sp_op_CI_CI_unitstride_sbrr_R2C_dirReg,@function
fft_rtc_back_len182_factors_13_2_7_wgs_52_tpt_13_sp_op_CI_CI_unitstride_sbrr_R2C_dirReg: ; @fft_rtc_back_len182_factors_13_2_7_wgs_52_tpt_13_sp_op_CI_CI_unitstride_sbrr_R2C_dirReg
; %bb.0:
	s_clause 0x2
	s_load_b128 s[8:11], s[0:1], 0x0
	s_load_b128 s[4:7], s[0:1], 0x58
	;; [unrolled: 1-line block ×3, first 2 shown]
	v_mul_u32_u24_e32 v1, 0x13b2, v0
	v_mov_b32_e32 v3, 0
	s_delay_alu instid0(VALU_DEP_2) | instskip(SKIP_2) | instid1(VALU_DEP_4)
	v_lshrrev_b32_e32 v7, 16, v1
	v_mov_b32_e32 v1, 0
	v_mov_b32_e32 v2, 0
	;; [unrolled: 1-line block ×3, first 2 shown]
	s_delay_alu instid0(VALU_DEP_4) | instskip(SKIP_2) | instid1(VALU_DEP_1)
	v_lshl_add_u32 v5, ttmp9, 2, v7
	s_wait_kmcnt 0x0
	v_cmp_lt_u64_e64 s2, s[10:11], 2
	s_and_b32 vcc_lo, exec_lo, s2
	s_cbranch_vccnz .LBB0_8
; %bb.1:
	s_load_b64 s[2:3], s[0:1], 0x10
	v_mov_b32_e32 v1, 0
	v_mov_b32_e32 v2, 0
	s_add_nc_u64 s[16:17], s[14:15], 8
	s_add_nc_u64 s[18:19], s[12:13], 8
	s_mov_b64 s[20:21], 1
	s_delay_alu instid0(VALU_DEP_1)
	v_dual_mov_b32 v49, v2 :: v_dual_mov_b32 v48, v1
	s_wait_kmcnt 0x0
	s_add_nc_u64 s[22:23], s[2:3], 8
	s_mov_b32 s3, 0
.LBB0_2:                                ; =>This Inner Loop Header: Depth=1
	s_load_b64 s[24:25], s[22:23], 0x0
                                        ; implicit-def: $vgpr52_vgpr53
	s_mov_b32 s2, exec_lo
	s_wait_kmcnt 0x0
	v_or_b32_e32 v4, s25, v6
	s_delay_alu instid0(VALU_DEP_1)
	v_cmpx_ne_u64_e32 0, v[3:4]
	s_wait_alu 0xfffe
	s_xor_b32 s26, exec_lo, s2
	s_cbranch_execz .LBB0_4
; %bb.3:                                ;   in Loop: Header=BB0_2 Depth=1
	s_cvt_f32_u32 s2, s24
	s_cvt_f32_u32 s27, s25
	s_sub_nc_u64 s[30:31], 0, s[24:25]
	s_wait_alu 0xfffe
	s_delay_alu instid0(SALU_CYCLE_1) | instskip(SKIP_1) | instid1(SALU_CYCLE_2)
	s_fmamk_f32 s2, s27, 0x4f800000, s2
	s_wait_alu 0xfffe
	v_s_rcp_f32 s2, s2
	s_delay_alu instid0(TRANS32_DEP_1) | instskip(SKIP_1) | instid1(SALU_CYCLE_2)
	s_mul_f32 s2, s2, 0x5f7ffffc
	s_wait_alu 0xfffe
	s_mul_f32 s27, s2, 0x2f800000
	s_wait_alu 0xfffe
	s_delay_alu instid0(SALU_CYCLE_2) | instskip(SKIP_1) | instid1(SALU_CYCLE_2)
	s_trunc_f32 s27, s27
	s_wait_alu 0xfffe
	s_fmamk_f32 s2, s27, 0xcf800000, s2
	s_cvt_u32_f32 s29, s27
	s_wait_alu 0xfffe
	s_delay_alu instid0(SALU_CYCLE_1) | instskip(SKIP_1) | instid1(SALU_CYCLE_2)
	s_cvt_u32_f32 s28, s2
	s_wait_alu 0xfffe
	s_mul_u64 s[34:35], s[30:31], s[28:29]
	s_wait_alu 0xfffe
	s_mul_hi_u32 s37, s28, s35
	s_mul_i32 s36, s28, s35
	s_mul_hi_u32 s2, s28, s34
	s_mul_i32 s33, s29, s34
	s_wait_alu 0xfffe
	s_add_nc_u64 s[36:37], s[2:3], s[36:37]
	s_mul_hi_u32 s27, s29, s34
	s_mul_hi_u32 s38, s29, s35
	s_add_co_u32 s2, s36, s33
	s_wait_alu 0xfffe
	s_add_co_ci_u32 s2, s37, s27
	s_mul_i32 s34, s29, s35
	s_add_co_ci_u32 s35, s38, 0
	s_wait_alu 0xfffe
	s_add_nc_u64 s[34:35], s[2:3], s[34:35]
	s_wait_alu 0xfffe
	v_add_co_u32 v4, s2, s28, s34
	s_delay_alu instid0(VALU_DEP_1) | instskip(SKIP_1) | instid1(VALU_DEP_1)
	s_cmp_lg_u32 s2, 0
	s_add_co_ci_u32 s29, s29, s35
	v_readfirstlane_b32 s28, v4
	s_wait_alu 0xfffe
	s_delay_alu instid0(VALU_DEP_1)
	s_mul_u64 s[30:31], s[30:31], s[28:29]
	s_wait_alu 0xfffe
	s_mul_hi_u32 s35, s28, s31
	s_mul_i32 s34, s28, s31
	s_mul_hi_u32 s2, s28, s30
	s_mul_i32 s33, s29, s30
	s_wait_alu 0xfffe
	s_add_nc_u64 s[34:35], s[2:3], s[34:35]
	s_mul_hi_u32 s27, s29, s30
	s_mul_hi_u32 s28, s29, s31
	s_wait_alu 0xfffe
	s_add_co_u32 s2, s34, s33
	s_add_co_ci_u32 s2, s35, s27
	s_mul_i32 s30, s29, s31
	s_add_co_ci_u32 s31, s28, 0
	s_wait_alu 0xfffe
	s_add_nc_u64 s[30:31], s[2:3], s[30:31]
	s_wait_alu 0xfffe
	v_add_co_u32 v4, s2, v4, s30
	s_delay_alu instid0(VALU_DEP_1) | instskip(SKIP_1) | instid1(VALU_DEP_1)
	s_cmp_lg_u32 s2, 0
	s_add_co_ci_u32 s2, s29, s31
	v_mul_hi_u32 v14, v5, v4
	s_wait_alu 0xfffe
	v_mad_co_u64_u32 v[8:9], null, v5, s2, 0
	v_mad_co_u64_u32 v[10:11], null, v6, v4, 0
	;; [unrolled: 1-line block ×3, first 2 shown]
	s_delay_alu instid0(VALU_DEP_3) | instskip(SKIP_1) | instid1(VALU_DEP_4)
	v_add_co_u32 v4, vcc_lo, v14, v8
	s_wait_alu 0xfffd
	v_add_co_ci_u32_e32 v8, vcc_lo, 0, v9, vcc_lo
	s_delay_alu instid0(VALU_DEP_2) | instskip(SKIP_1) | instid1(VALU_DEP_2)
	v_add_co_u32 v4, vcc_lo, v4, v10
	s_wait_alu 0xfffd
	v_add_co_ci_u32_e32 v4, vcc_lo, v8, v11, vcc_lo
	s_wait_alu 0xfffd
	v_add_co_ci_u32_e32 v8, vcc_lo, 0, v13, vcc_lo
	s_delay_alu instid0(VALU_DEP_2) | instskip(SKIP_1) | instid1(VALU_DEP_2)
	v_add_co_u32 v4, vcc_lo, v4, v12
	s_wait_alu 0xfffd
	v_add_co_ci_u32_e32 v10, vcc_lo, 0, v8, vcc_lo
	s_delay_alu instid0(VALU_DEP_2) | instskip(SKIP_1) | instid1(VALU_DEP_3)
	v_mul_lo_u32 v11, s25, v4
	v_mad_co_u64_u32 v[8:9], null, s24, v4, 0
	v_mul_lo_u32 v12, s24, v10
	s_delay_alu instid0(VALU_DEP_2) | instskip(NEXT) | instid1(VALU_DEP_2)
	v_sub_co_u32 v8, vcc_lo, v5, v8
	v_add3_u32 v9, v9, v12, v11
	s_delay_alu instid0(VALU_DEP_1) | instskip(SKIP_1) | instid1(VALU_DEP_1)
	v_sub_nc_u32_e32 v11, v6, v9
	s_wait_alu 0xfffd
	v_subrev_co_ci_u32_e64 v11, s2, s25, v11, vcc_lo
	v_add_co_u32 v12, s2, v4, 2
	s_wait_alu 0xf1ff
	v_add_co_ci_u32_e64 v13, s2, 0, v10, s2
	v_sub_co_u32 v14, s2, v8, s24
	v_sub_co_ci_u32_e32 v9, vcc_lo, v6, v9, vcc_lo
	s_wait_alu 0xf1ff
	v_subrev_co_ci_u32_e64 v11, s2, 0, v11, s2
	s_delay_alu instid0(VALU_DEP_3) | instskip(NEXT) | instid1(VALU_DEP_3)
	v_cmp_le_u32_e32 vcc_lo, s24, v14
	v_cmp_eq_u32_e64 s2, s25, v9
	s_wait_alu 0xfffd
	v_cndmask_b32_e64 v14, 0, -1, vcc_lo
	v_cmp_le_u32_e32 vcc_lo, s25, v11
	s_wait_alu 0xfffd
	v_cndmask_b32_e64 v15, 0, -1, vcc_lo
	v_cmp_le_u32_e32 vcc_lo, s24, v8
	;; [unrolled: 3-line block ×3, first 2 shown]
	s_wait_alu 0xfffd
	v_cndmask_b32_e64 v16, 0, -1, vcc_lo
	v_cmp_eq_u32_e32 vcc_lo, s25, v11
	s_wait_alu 0xf1ff
	s_delay_alu instid0(VALU_DEP_2)
	v_cndmask_b32_e64 v8, v16, v8, s2
	s_wait_alu 0xfffd
	v_cndmask_b32_e32 v11, v15, v14, vcc_lo
	v_add_co_u32 v14, vcc_lo, v4, 1
	s_wait_alu 0xfffd
	v_add_co_ci_u32_e32 v15, vcc_lo, 0, v10, vcc_lo
	s_delay_alu instid0(VALU_DEP_3) | instskip(SKIP_2) | instid1(VALU_DEP_3)
	v_cmp_ne_u32_e32 vcc_lo, 0, v11
	s_wait_alu 0xfffd
	v_cndmask_b32_e32 v11, v14, v12, vcc_lo
	v_cndmask_b32_e32 v9, v15, v13, vcc_lo
	v_cmp_ne_u32_e32 vcc_lo, 0, v8
	s_wait_alu 0xfffd
	s_delay_alu instid0(VALU_DEP_2)
	v_dual_cndmask_b32 v52, v4, v11 :: v_dual_cndmask_b32 v53, v10, v9
.LBB0_4:                                ;   in Loop: Header=BB0_2 Depth=1
	s_wait_alu 0xfffe
	s_and_not1_saveexec_b32 s2, s26
	s_cbranch_execz .LBB0_6
; %bb.5:                                ;   in Loop: Header=BB0_2 Depth=1
	v_cvt_f32_u32_e32 v4, s24
	s_sub_co_i32 s26, 0, s24
	v_mov_b32_e32 v53, v3
	s_delay_alu instid0(VALU_DEP_2) | instskip(NEXT) | instid1(TRANS32_DEP_1)
	v_rcp_iflag_f32_e32 v4, v4
	v_mul_f32_e32 v4, 0x4f7ffffe, v4
	s_delay_alu instid0(VALU_DEP_1) | instskip(SKIP_1) | instid1(VALU_DEP_1)
	v_cvt_u32_f32_e32 v4, v4
	s_wait_alu 0xfffe
	v_mul_lo_u32 v8, s26, v4
	s_delay_alu instid0(VALU_DEP_1) | instskip(NEXT) | instid1(VALU_DEP_1)
	v_mul_hi_u32 v8, v4, v8
	v_add_nc_u32_e32 v4, v4, v8
	s_delay_alu instid0(VALU_DEP_1) | instskip(NEXT) | instid1(VALU_DEP_1)
	v_mul_hi_u32 v4, v5, v4
	v_mul_lo_u32 v8, v4, s24
	s_delay_alu instid0(VALU_DEP_1) | instskip(NEXT) | instid1(VALU_DEP_1)
	v_sub_nc_u32_e32 v8, v5, v8
	v_subrev_nc_u32_e32 v10, s24, v8
	v_cmp_le_u32_e32 vcc_lo, s24, v8
	s_wait_alu 0xfffd
	s_delay_alu instid0(VALU_DEP_2) | instskip(NEXT) | instid1(VALU_DEP_1)
	v_dual_cndmask_b32 v8, v8, v10 :: v_dual_add_nc_u32 v9, 1, v4
	v_cndmask_b32_e32 v4, v4, v9, vcc_lo
	s_delay_alu instid0(VALU_DEP_2) | instskip(NEXT) | instid1(VALU_DEP_2)
	v_cmp_le_u32_e32 vcc_lo, s24, v8
	v_add_nc_u32_e32 v9, 1, v4
	s_wait_alu 0xfffd
	s_delay_alu instid0(VALU_DEP_1)
	v_cndmask_b32_e32 v52, v4, v9, vcc_lo
.LBB0_6:                                ;   in Loop: Header=BB0_2 Depth=1
	s_wait_alu 0xfffe
	s_or_b32 exec_lo, exec_lo, s2
	v_mul_lo_u32 v4, v53, s24
	s_delay_alu instid0(VALU_DEP_2)
	v_mul_lo_u32 v10, v52, s25
	s_load_b64 s[26:27], s[18:19], 0x0
	v_mad_co_u64_u32 v[8:9], null, v52, s24, 0
	s_load_b64 s[24:25], s[16:17], 0x0
	s_add_nc_u64 s[20:21], s[20:21], 1
	s_add_nc_u64 s[16:17], s[16:17], 8
	s_wait_alu 0xfffe
	v_cmp_ge_u64_e64 s2, s[20:21], s[10:11]
	s_add_nc_u64 s[18:19], s[18:19], 8
	s_add_nc_u64 s[22:23], s[22:23], 8
	v_add3_u32 v4, v9, v10, v4
	v_sub_co_u32 v5, vcc_lo, v5, v8
	s_wait_alu 0xfffd
	s_delay_alu instid0(VALU_DEP_2) | instskip(SKIP_2) | instid1(VALU_DEP_1)
	v_sub_co_ci_u32_e32 v4, vcc_lo, v6, v4, vcc_lo
	s_and_b32 vcc_lo, exec_lo, s2
	s_wait_kmcnt 0x0
	v_mul_lo_u32 v6, s26, v4
	v_mul_lo_u32 v8, s27, v5
	v_mad_co_u64_u32 v[1:2], null, s26, v5, v[1:2]
	v_mul_lo_u32 v4, s24, v4
	v_mul_lo_u32 v9, s25, v5
	v_mad_co_u64_u32 v[48:49], null, s24, v5, v[48:49]
	s_delay_alu instid0(VALU_DEP_4) | instskip(NEXT) | instid1(VALU_DEP_2)
	v_add3_u32 v2, v8, v2, v6
	v_add3_u32 v49, v9, v49, v4
	s_wait_alu 0xfffe
	s_cbranch_vccnz .LBB0_9
; %bb.7:                                ;   in Loop: Header=BB0_2 Depth=1
	v_dual_mov_b32 v5, v52 :: v_dual_mov_b32 v6, v53
	s_branch .LBB0_2
.LBB0_8:
	v_dual_mov_b32 v49, v2 :: v_dual_mov_b32 v48, v1
	v_dual_mov_b32 v53, v6 :: v_dual_mov_b32 v52, v5
.LBB0_9:
	s_load_b64 s[0:1], s[0:1], 0x28
	v_mul_hi_u32 v3, 0x13b13b14, v0
	v_and_b32_e32 v4, 3, v7
	s_lshl_b64 s[10:11], s[10:11], 3
                                        ; implicit-def: $vgpr50
	s_wait_kmcnt 0x0
	v_cmp_gt_u64_e32 vcc_lo, s[0:1], v[52:53]
	v_cmp_le_u64_e64 s0, s[0:1], v[52:53]
	s_delay_alu instid0(VALU_DEP_1)
	s_and_saveexec_b32 s1, s0
	s_wait_alu 0xfffe
	s_xor_b32 s0, exec_lo, s1
; %bb.10:
	v_mul_u32_u24_e32 v1, 13, v3
                                        ; implicit-def: $vgpr3
	s_delay_alu instid0(VALU_DEP_1)
	v_sub_nc_u32_e32 v50, v0, v1
                                        ; implicit-def: $vgpr0
                                        ; implicit-def: $vgpr1_vgpr2
; %bb.11:
	s_wait_alu 0xfffe
	s_or_saveexec_b32 s1, s0
	v_mul_u32_u24_e32 v4, 0xb7, v4
	s_add_nc_u64 s[2:3], s[14:15], s[10:11]
	s_delay_alu instid0(VALU_DEP_1)
	v_lshlrev_b32_e32 v60, 3, v4
	s_wait_alu 0xfffe
	s_xor_b32 exec_lo, exec_lo, s1
	s_cbranch_execz .LBB0_13
; %bb.12:
	s_add_nc_u64 s[10:11], s[12:13], s[10:11]
	v_lshlrev_b64_e32 v[1:2], 3, v[1:2]
	s_load_b64 s[10:11], s[10:11], 0x0
	s_wait_kmcnt 0x0
	v_mul_lo_u32 v6, s11, v52
	v_mul_lo_u32 v7, s10, v53
	v_mad_co_u64_u32 v[4:5], null, s10, v52, 0
	s_delay_alu instid0(VALU_DEP_1) | instskip(SKIP_1) | instid1(VALU_DEP_2)
	v_add3_u32 v5, v5, v7, v6
	v_mul_u32_u24_e32 v6, 13, v3
	v_lshlrev_b64_e32 v[3:4], 3, v[4:5]
	s_delay_alu instid0(VALU_DEP_2) | instskip(NEXT) | instid1(VALU_DEP_1)
	v_sub_nc_u32_e32 v50, v0, v6
	v_lshlrev_b32_e32 v28, 3, v50
	s_delay_alu instid0(VALU_DEP_3) | instskip(SKIP_1) | instid1(VALU_DEP_4)
	v_add_co_u32 v0, s0, s4, v3
	s_wait_alu 0xf1ff
	v_add_co_ci_u32_e64 v3, s0, s5, v4, s0
	s_delay_alu instid0(VALU_DEP_2) | instskip(SKIP_1) | instid1(VALU_DEP_2)
	v_add_co_u32 v0, s0, v0, v1
	s_wait_alu 0xf1ff
	v_add_co_ci_u32_e64 v1, s0, v3, v2, s0
	s_delay_alu instid0(VALU_DEP_2) | instskip(SKIP_1) | instid1(VALU_DEP_2)
	v_add_co_u32 v0, s0, v0, v28
	s_wait_alu 0xf1ff
	v_add_co_ci_u32_e64 v1, s0, 0, v1, s0
	s_clause 0xd
	global_load_b64 v[2:3], v[0:1], off
	global_load_b64 v[4:5], v[0:1], off offset:104
	global_load_b64 v[6:7], v[0:1], off offset:208
	;; [unrolled: 1-line block ×13, first 2 shown]
	v_add3_u32 v28, 0, v60, v28
	s_wait_loadcnt 0xc
	ds_store_2addr_b64 v28, v[2:3], v[4:5] offset1:13
	s_wait_loadcnt 0xa
	ds_store_2addr_b64 v28, v[6:7], v[8:9] offset0:26 offset1:39
	s_wait_loadcnt 0x8
	ds_store_2addr_b64 v28, v[10:11], v[12:13] offset0:52 offset1:65
	;; [unrolled: 2-line block ×6, first 2 shown]
.LBB0_13:
	s_or_b32 exec_lo, exec_lo, s1
	v_lshlrev_b32_e32 v58, 3, v50
	v_add_nc_u32_e32 v56, 0, v60
	s_load_b64 s[2:3], s[2:3], 0x0
	global_wb scope:SCOPE_SE
	s_wait_dscnt 0x0
	s_wait_kmcnt 0x0
	s_barrier_signal -1
	v_add_nc_u32_e32 v0, 0, v58
	v_add_nc_u32_e32 v57, v56, v58
	s_barrier_wait -1
	global_inv scope:SCOPE_SE
	v_cmp_ne_u32_e64 s0, 0, v50
	v_add_nc_u32_e32 v59, v0, v60
	s_mov_b32 s4, exec_lo
	ds_load_b64 v[61:62], v57
	ds_load_2addr_b64 v[0:3], v59 offset0:13 offset1:14
	ds_load_2addr_b64 v[4:7], v59 offset0:167 offset1:168
	ds_load_2addr_b64 v[44:47], v59 offset0:27 offset1:28
	ds_load_2addr_b64 v[40:43], v59 offset0:41 offset1:42
	ds_load_2addr_b64 v[36:39], v59 offset0:55 offset1:56
	ds_load_2addr_b64 v[32:35], v59 offset0:69 offset1:70
	ds_load_2addr_b64 v[28:31], v59 offset0:83 offset1:84
	ds_load_2addr_b64 v[24:27], v59 offset0:97 offset1:98
	ds_load_2addr_b64 v[20:23], v59 offset0:111 offset1:112
	ds_load_2addr_b64 v[16:19], v59 offset0:125 offset1:126
	ds_load_2addr_b64 v[12:15], v59 offset0:139 offset1:140
	ds_load_2addr_b64 v[8:11], v59 offset0:153 offset1:154
	ds_load_b64 v[54:55], v59 offset:1448
	global_wb scope:SCOPE_SE
	s_wait_dscnt 0x0
	s_barrier_signal -1
	s_barrier_wait -1
	global_inv scope:SCOPE_SE
	v_add_f32_e32 v51, v61, v2
	v_dual_add_f32 v64, v6, v2 :: v_dual_sub_f32 v65, v3, v7
	v_add_f32_e32 v63, v62, v3
	v_dual_add_f32 v66, v7, v3 :: v_dual_sub_f32 v67, v2, v6
	s_delay_alu instid0(VALU_DEP_3) | instskip(NEXT) | instid1(VALU_DEP_3)
	v_dual_add_f32 v2, v51, v46 :: v_dual_mul_f32 v51, 0xbeedf032, v65
	v_dual_add_f32 v3, v63, v47 :: v_dual_mul_f32 v70, 0xbf7e222b, v65
	s_delay_alu instid0(VALU_DEP_3) | instskip(SKIP_1) | instid1(VALU_DEP_4)
	v_mul_f32_e32 v63, 0x3f62ad3f, v66
	v_mul_f32_e32 v68, 0xbf52af12, v65
	v_fmamk_f32 v76, v64, 0x3f62ad3f, v51
	v_add_f32_e32 v2, v2, v42
	v_mul_f32_e32 v69, 0x3f116cb1, v66
	v_fmamk_f32 v77, v67, 0x3eedf032, v63
	v_fmamk_f32 v78, v64, 0x3f116cb1, v68
	s_delay_alu instid0(VALU_DEP_4) | instskip(SKIP_3) | instid1(VALU_DEP_4)
	v_dual_fmac_f32 v63, 0xbeedf032, v67 :: v_dual_add_f32 v2, v2, v38
	v_dual_mul_f32 v72, 0xbf6f5d39, v65 :: v_dual_add_f32 v3, v3, v43
	v_fmamk_f32 v79, v67, 0x3f52af12, v69
	v_mul_f32_e32 v74, 0xbf29c268, v65
	v_dual_add_f32 v2, v2, v34 :: v_dual_fmac_f32 v69, 0xbf52af12, v67
	s_delay_alu instid0(VALU_DEP_4) | instskip(SKIP_1) | instid1(VALU_DEP_3)
	v_add_f32_e32 v3, v3, v39
	v_dual_mul_f32 v71, 0x3df6dbef, v66 :: v_dual_fmamk_f32 v80, v64, 0x3df6dbef, v70
	v_add_f32_e32 v2, v2, v30
	v_dual_mul_f32 v73, 0xbeb58ec6, v66 :: v_dual_fmamk_f32 v82, v64, 0xbeb58ec6, v72
	s_delay_alu instid0(VALU_DEP_4) | instskip(SKIP_1) | instid1(VALU_DEP_4)
	v_add_f32_e32 v3, v3, v35
	v_fma_f32 v72, 0xbeb58ec6, v64, -v72
	v_dual_add_f32 v2, v2, v26 :: v_dual_fmamk_f32 v81, v67, 0x3f7e222b, v71
	v_dual_mul_f32 v75, 0xbf3f9e67, v66 :: v_dual_add_f32 v76, v61, v76
	v_fma_f32 v51, 0x3f62ad3f, v64, -v51
	s_delay_alu instid0(VALU_DEP_3) | instskip(SKIP_2) | instid1(VALU_DEP_3)
	v_dual_add_f32 v2, v2, v22 :: v_dual_add_f32 v3, v3, v31
	v_fma_f32 v68, 0x3f116cb1, v64, -v68
	v_dual_fmac_f32 v71, 0xbf7e222b, v67 :: v_dual_add_f32 v78, v61, v78
	v_dual_add_f32 v2, v2, v18 :: v_dual_add_f32 v3, v3, v27
	s_delay_alu instid0(VALU_DEP_3) | instskip(SKIP_1) | instid1(VALU_DEP_3)
	v_dual_fmamk_f32 v83, v67, 0x3f6f5d39, v73 :: v_dual_add_f32 v68, v61, v68
	v_dual_fmac_f32 v73, 0xbf6f5d39, v67 :: v_dual_add_f32 v80, v61, v80
	v_dual_add_f32 v2, v2, v14 :: v_dual_add_f32 v3, v3, v23
	v_dual_add_f32 v72, v61, v72 :: v_dual_add_f32 v87, v10, v46
	;; [unrolled: 1-line block ×3, first 2 shown]
	s_delay_alu instid0(VALU_DEP_3) | instskip(SKIP_2) | instid1(VALU_DEP_3)
	v_dual_add_f32 v2, v2, v10 :: v_dual_add_f32 v3, v3, v19
	v_dual_mul_f32 v66, 0xbf788fa5, v66 :: v_dual_add_f32 v51, v61, v51
	v_add_f32_e32 v71, v62, v71
	v_dual_add_f32 v2, v2, v6 :: v_dual_add_f32 v3, v3, v15
	v_add_f32_e32 v6, v62, v83
	s_delay_alu instid0(VALU_DEP_4) | instskip(SKIP_1) | instid1(VALU_DEP_4)
	v_dual_add_f32 v73, v62, v73 :: v_dual_fmamk_f32 v86, v67, 0x3e750f2a, v66
	v_fmac_f32_e32 v66, 0xbe750f2a, v67
	v_dual_add_f32 v3, v3, v11 :: v_dual_sub_f32 v10, v46, v10
	v_mul_f32_e32 v65, 0xbe750f2a, v65
	v_sub_f32_e32 v85, v47, v11
	v_fma_f32 v70, 0x3df6dbef, v64, -v70
	s_delay_alu instid0(VALU_DEP_4)
	v_add_f32_e32 v3, v3, v7
	v_fmamk_f32 v7, v64, 0xbf3f9e67, v74
	v_fma_f32 v74, 0xbf3f9e67, v64, -v74
	v_add_f32_e32 v69, v62, v69
	v_dual_add_f32 v79, v62, v79 :: v_dual_fmamk_f32 v84, v64, 0xbf788fa5, v65
	v_fma_f32 v64, 0xbf788fa5, v64, -v65
	s_delay_alu instid0(VALU_DEP_4) | instskip(SKIP_3) | instid1(VALU_DEP_4)
	v_dual_add_f32 v74, v61, v74 :: v_dual_add_f32 v11, v11, v47
	v_mul_f32_e32 v47, 0xbf52af12, v85
	v_dual_add_f32 v77, v62, v77 :: v_dual_add_f32 v70, v61, v70
	v_dual_add_f32 v81, v62, v81 :: v_dual_add_f32 v84, v61, v84
	v_mul_f32_e32 v46, 0x3f116cb1, v11
	v_add_f32_e32 v7, v61, v7
	v_fmamk_f32 v65, v87, 0x3f116cb1, v47
	v_add_f32_e32 v61, v61, v64
	v_fma_f32 v47, 0x3f116cb1, v87, -v47
	v_fmamk_f32 v64, v10, 0x3f52af12, v46
	v_fmamk_f32 v83, v67, 0x3f29c268, v75
	v_fmac_f32_e32 v75, 0xbf29c268, v67
	v_add_f32_e32 v67, v62, v86
	v_dual_add_f32 v65, v65, v76 :: v_dual_mul_f32 v76, 0xbeb58ec6, v11
	s_delay_alu instid0(VALU_DEP_3) | instskip(SKIP_1) | instid1(VALU_DEP_3)
	v_dual_fmac_f32 v46, 0xbf52af12, v10 :: v_dual_add_f32 v75, v62, v75
	v_dual_add_f32 v64, v64, v77 :: v_dual_add_f32 v47, v47, v51
	v_fmamk_f32 v51, v10, 0x3f6f5d39, v76
	s_delay_alu instid0(VALU_DEP_3) | instskip(SKIP_4) | instid1(VALU_DEP_2)
	v_add_f32_e32 v46, v46, v63
	v_dual_fmac_f32 v76, 0xbf6f5d39, v10 :: v_dual_add_f32 v83, v62, v83
	v_add_f32_e32 v62, v62, v66
	v_mul_f32_e32 v66, 0xbf6f5d39, v85
	v_mul_f32_e32 v63, 0xbe750f2a, v85
	v_fmamk_f32 v77, v87, 0xbeb58ec6, v66
	v_fma_f32 v66, 0xbeb58ec6, v87, -v66
	s_delay_alu instid0(VALU_DEP_3) | instskip(SKIP_1) | instid1(VALU_DEP_3)
	v_fmamk_f32 v86, v87, 0xbf788fa5, v63
	v_fma_f32 v63, 0xbf788fa5, v87, -v63
	v_add_f32_e32 v66, v66, v68
	v_add_f32_e32 v68, v76, v69
	s_delay_alu instid0(VALU_DEP_4)
	v_add_f32_e32 v76, v86, v80
	v_mul_f32_e32 v80, 0xbf3f9e67, v11
	v_add_f32_e32 v51, v51, v79
	v_add_f32_e32 v63, v63, v70
	v_mul_f32_e32 v79, 0x3f29c268, v85
	v_mul_f32_e32 v86, 0x3f7e222b, v85
	v_fmamk_f32 v70, v10, 0xbf29c268, v80
	v_fmac_f32_e32 v80, 0x3f29c268, v10
	s_delay_alu instid0(VALU_DEP_2) | instskip(SKIP_1) | instid1(VALU_DEP_1)
	v_add_f32_e32 v6, v70, v6
	v_dual_add_f32 v77, v77, v78 :: v_dual_mul_f32 v78, 0xbf788fa5, v11
	v_fmamk_f32 v69, v10, 0x3e750f2a, v78
	s_delay_alu instid0(VALU_DEP_1) | instskip(SKIP_2) | instid1(VALU_DEP_2)
	v_dual_fmac_f32 v78, 0xbe750f2a, v10 :: v_dual_add_f32 v69, v69, v81
	v_fmamk_f32 v81, v87, 0xbf3f9e67, v79
	v_fma_f32 v79, 0xbf3f9e67, v87, -v79
	v_dual_add_f32 v71, v78, v71 :: v_dual_add_f32 v78, v81, v82
	v_mul_f32_e32 v82, 0x3df6dbef, v11
	s_delay_alu instid0(VALU_DEP_3)
	v_add_f32_e32 v70, v79, v72
	v_add_f32_e32 v72, v80, v73
	v_fma_f32 v80, 0x3df6dbef, v87, -v86
	v_mul_f32_e32 v11, 0x3f62ad3f, v11
	v_fmamk_f32 v73, v10, 0xbf7e222b, v82
	v_fmac_f32_e32 v82, 0x3f7e222b, v10
	s_delay_alu instid0(VALU_DEP_4)
	v_dual_fmamk_f32 v81, v87, 0x3df6dbef, v86 :: v_dual_add_f32 v74, v80, v74
	v_sub_f32_e32 v80, v43, v15
	v_add_f32_e32 v15, v15, v43
	v_add_f32_e32 v73, v73, v83
	v_fmamk_f32 v83, v10, 0xbeedf032, v11
	v_fmac_f32_e32 v11, 0x3eedf032, v10
	v_dual_mul_f32 v43, 0xbf7e222b, v80 :: v_dual_sub_f32 v10, v42, v14
	v_add_f32_e32 v75, v82, v75
	v_add_f32_e32 v82, v14, v42
	v_mul_f32_e32 v14, 0x3df6dbef, v15
	v_add_f32_e32 v7, v81, v7
	s_delay_alu instid0(VALU_DEP_3) | instskip(NEXT) | instid1(VALU_DEP_3)
	v_dual_add_f32 v11, v11, v62 :: v_dual_fmamk_f32 v42, v82, 0x3df6dbef, v43
	v_fmamk_f32 v62, v10, 0x3f7e222b, v14
	v_mul_f32_e32 v79, 0x3eedf032, v85
	v_fmac_f32_e32 v14, 0xbf7e222b, v10
	v_fma_f32 v43, 0x3df6dbef, v82, -v43
	v_add_f32_e32 v42, v42, v65
	s_delay_alu instid0(VALU_DEP_4) | instskip(NEXT) | instid1(VALU_DEP_4)
	v_dual_add_f32 v62, v62, v64 :: v_dual_fmamk_f32 v81, v87, 0x3f62ad3f, v79
	v_dual_add_f32 v14, v14, v46 :: v_dual_mul_f32 v65, 0xbe750f2a, v80
	v_fma_f32 v79, 0x3f62ad3f, v87, -v79
	v_mul_f32_e32 v46, 0x3f6f5d39, v80
	s_delay_alu instid0(VALU_DEP_4) | instskip(NEXT) | instid1(VALU_DEP_4)
	v_add_f32_e32 v81, v81, v84
	v_dual_add_f32 v43, v43, v47 :: v_dual_fmamk_f32 v64, v82, 0xbf788fa5, v65
	s_delay_alu instid0(VALU_DEP_4) | instskip(NEXT) | instid1(VALU_DEP_2)
	v_add_f32_e32 v61, v79, v61
	v_dual_mul_f32 v79, 0xbf788fa5, v15 :: v_dual_add_f32 v64, v64, v77
	v_mul_f32_e32 v77, 0xbeb58ec6, v15
	v_add_f32_e32 v67, v83, v67
	v_fmamk_f32 v83, v82, 0xbeb58ec6, v46
	v_fma_f32 v46, 0xbeb58ec6, v82, -v46
	v_fmamk_f32 v47, v10, 0x3e750f2a, v79
	s_delay_alu instid0(VALU_DEP_2) | instskip(SKIP_1) | instid1(VALU_DEP_3)
	v_dual_fmac_f32 v79, 0xbe750f2a, v10 :: v_dual_add_f32 v46, v46, v63
	v_fma_f32 v65, 0xbf788fa5, v82, -v65
	v_add_f32_e32 v47, v47, v51
	s_delay_alu instid0(VALU_DEP_2) | instskip(NEXT) | instid1(VALU_DEP_4)
	v_add_f32_e32 v51, v65, v66
	v_dual_add_f32 v65, v79, v68 :: v_dual_fmamk_f32 v66, v10, 0xbf6f5d39, v77
	v_add_f32_e32 v68, v83, v76
	v_mul_f32_e32 v76, 0x3eedf032, v80
	v_mul_f32_e32 v79, 0x3f62ad3f, v15
	s_delay_alu instid0(VALU_DEP_4) | instskip(NEXT) | instid1(VALU_DEP_3)
	v_dual_mul_f32 v83, 0xbf52af12, v80 :: v_dual_add_f32 v66, v66, v69
	v_fmamk_f32 v69, v82, 0x3f62ad3f, v76
	s_delay_alu instid0(VALU_DEP_3) | instskip(SKIP_2) | instid1(VALU_DEP_4)
	v_fmamk_f32 v63, v10, 0xbeedf032, v79
	v_fma_f32 v76, 0x3f62ad3f, v82, -v76
	v_fmac_f32_e32 v79, 0x3eedf032, v10
	v_dual_add_f32 v69, v69, v78 :: v_dual_mul_f32 v78, 0x3f116cb1, v15
	s_delay_alu instid0(VALU_DEP_4) | instskip(NEXT) | instid1(VALU_DEP_3)
	v_add_f32_e32 v6, v63, v6
	v_dual_add_f32 v63, v76, v70 :: v_dual_add_f32 v70, v79, v72
	v_mul_f32_e32 v76, 0xbf29c268, v80
	s_delay_alu instid0(VALU_DEP_4) | instskip(SKIP_1) | instid1(VALU_DEP_1)
	v_fmamk_f32 v72, v10, 0x3f52af12, v78
	v_fmac_f32_e32 v78, 0xbf52af12, v10
	v_dual_add_f32 v72, v72, v73 :: v_dual_add_f32 v75, v78, v75
	v_add_f32_e32 v78, v18, v38
	v_fmac_f32_e32 v77, 0x3f6f5d39, v10
	v_mul_f32_e32 v15, 0xbf3f9e67, v15
	s_delay_alu instid0(VALU_DEP_2) | instskip(SKIP_1) | instid1(VALU_DEP_3)
	v_add_f32_e32 v71, v77, v71
	v_fmamk_f32 v77, v82, 0x3f116cb1, v83
	v_fmamk_f32 v79, v10, 0x3f29c268, v15
	v_fmac_f32_e32 v15, 0xbf29c268, v10
	s_delay_alu instid0(VALU_DEP_3) | instskip(SKIP_1) | instid1(VALU_DEP_1)
	v_dual_sub_f32 v10, v38, v18 :: v_dual_add_f32 v7, v77, v7
	v_fma_f32 v77, 0x3f116cb1, v82, -v83
	v_dual_add_f32 v11, v15, v11 :: v_dual_add_f32 v74, v77, v74
	v_sub_f32_e32 v77, v39, v19
	v_add_f32_e32 v19, v19, v39
	v_fmamk_f32 v73, v82, 0xbf3f9e67, v76
	v_fma_f32 v76, 0xbf3f9e67, v82, -v76
	s_delay_alu instid0(VALU_DEP_1) | instskip(SKIP_1) | instid1(VALU_DEP_2)
	v_dual_mul_f32 v18, 0xbeb58ec6, v19 :: v_dual_add_f32 v61, v76, v61
	v_mul_f32_e32 v76, 0xbf3f9e67, v19
	v_fmamk_f32 v15, v10, 0x3f6f5d39, v18
	v_fmac_f32_e32 v18, 0xbf6f5d39, v10
	s_delay_alu instid0(VALU_DEP_2) | instskip(NEXT) | instid1(VALU_DEP_2)
	v_add_f32_e32 v15, v15, v62
	v_dual_add_f32 v14, v18, v14 :: v_dual_mul_f32 v39, 0xbf6f5d39, v77
	v_mul_f32_e32 v18, 0x3eedf032, v77
	s_delay_alu instid0(VALU_DEP_2) | instskip(SKIP_1) | instid1(VALU_DEP_2)
	v_fmamk_f32 v38, v78, 0xbeb58ec6, v39
	v_fma_f32 v39, 0xbeb58ec6, v78, -v39
	v_add_f32_e32 v38, v38, v42
	s_delay_alu instid0(VALU_DEP_2) | instskip(SKIP_2) | instid1(VALU_DEP_3)
	v_dual_mul_f32 v42, 0x3f29c268, v77 :: v_dual_add_f32 v39, v39, v43
	v_fmamk_f32 v43, v10, 0xbf29c268, v76
	v_dual_fmac_f32 v76, 0x3f29c268, v10 :: v_dual_add_f32 v67, v79, v67
	v_fmamk_f32 v62, v78, 0xbf3f9e67, v42
	v_fma_f32 v42, 0xbf3f9e67, v78, -v42
	v_add_f32_e32 v73, v73, v81
	v_add_f32_e32 v43, v43, v47
	s_delay_alu instid0(VALU_DEP_4) | instskip(SKIP_4) | instid1(VALU_DEP_4)
	v_dual_add_f32 v47, v76, v65 :: v_dual_add_f32 v62, v62, v64
	v_mul_f32_e32 v64, 0x3f62ad3f, v19
	v_add_f32_e32 v42, v42, v51
	v_fmamk_f32 v79, v78, 0x3f62ad3f, v18
	v_fma_f32 v18, 0x3f62ad3f, v78, -v18
	v_fmamk_f32 v51, v10, 0xbeedf032, v64
	v_fmac_f32_e32 v64, 0x3eedf032, v10
	v_mul_f32_e32 v76, 0x3df6dbef, v19
	s_delay_alu instid0(VALU_DEP_4) | instskip(NEXT) | instid1(VALU_DEP_3)
	v_add_f32_e32 v18, v18, v46
	v_dual_add_f32 v51, v51, v66 :: v_dual_add_f32 v64, v64, v71
	v_mul_f32_e32 v71, 0xbf788fa5, v19
	v_mul_f32_e32 v19, 0x3f116cb1, v19
	v_dual_add_f32 v65, v79, v68 :: v_dual_mul_f32 v68, 0xbf7e222b, v77
	v_fmamk_f32 v46, v10, 0x3f7e222b, v76
	v_mul_f32_e32 v79, 0x3e750f2a, v77
	v_fmac_f32_e32 v76, 0xbf7e222b, v10
	s_delay_alu instid0(VALU_DEP_4) | instskip(SKIP_2) | instid1(VALU_DEP_3)
	v_fmamk_f32 v66, v78, 0x3df6dbef, v68
	v_fma_f32 v68, 0x3df6dbef, v78, -v68
	v_add_f32_e32 v6, v46, v6
	v_add_f32_e32 v66, v66, v69
	s_delay_alu instid0(VALU_DEP_3)
	v_add_f32_e32 v46, v68, v63
	v_add_f32_e32 v63, v76, v70
	v_fma_f32 v70, 0xbf788fa5, v78, -v79
	v_fmamk_f32 v68, v10, 0xbe750f2a, v71
	v_fmamk_f32 v76, v10, 0xbf52af12, v19
	v_fmac_f32_e32 v19, 0x3f52af12, v10
	s_delay_alu instid0(VALU_DEP_4) | instskip(SKIP_2) | instid1(VALU_DEP_2)
	v_add_f32_e32 v70, v70, v74
	v_dual_fmamk_f32 v69, v78, 0xbf788fa5, v79 :: v_dual_sub_f32 v74, v35, v23
	v_dual_add_f32 v68, v68, v72 :: v_dual_add_f32 v23, v23, v35
	v_add_f32_e32 v7, v69, v7
	v_mul_f32_e32 v69, 0x3f52af12, v77
	s_delay_alu instid0(VALU_DEP_1) | instskip(SKIP_3) | instid1(VALU_DEP_4)
	v_fmamk_f32 v72, v78, 0x3f116cb1, v69
	v_fmac_f32_e32 v71, 0x3e750f2a, v10
	v_sub_f32_e32 v10, v34, v22
	v_fma_f32 v69, 0x3f116cb1, v78, -v69
	v_dual_add_f32 v72, v72, v73 :: v_dual_add_f32 v73, v22, v34
	v_mul_f32_e32 v22, 0xbf3f9e67, v23
	v_mul_f32_e32 v35, 0xbf29c268, v74
	s_delay_alu instid0(VALU_DEP_4) | instskip(SKIP_1) | instid1(VALU_DEP_4)
	v_add_f32_e32 v61, v69, v61
	v_add_f32_e32 v69, v19, v11
	v_fmamk_f32 v11, v10, 0x3f29c268, v22
	s_delay_alu instid0(VALU_DEP_4) | instskip(NEXT) | instid1(VALU_DEP_2)
	v_fmamk_f32 v34, v73, 0xbf3f9e67, v35
	v_dual_fmac_f32 v22, 0xbf29c268, v10 :: v_dual_add_f32 v11, v11, v15
	s_delay_alu instid0(VALU_DEP_2) | instskip(SKIP_1) | instid1(VALU_DEP_3)
	v_dual_add_f32 v19, v34, v38 :: v_dual_mul_f32 v38, 0x3df6dbef, v23
	v_fma_f32 v35, 0xbf3f9e67, v73, -v35
	v_dual_add_f32 v67, v76, v67 :: v_dual_add_f32 v14, v22, v14
	v_mul_f32_e32 v22, 0xbf52af12, v74
	s_delay_alu instid0(VALU_DEP_3) | instskip(SKIP_1) | instid1(VALU_DEP_1)
	v_dual_mul_f32 v34, 0x3f7e222b, v74 :: v_dual_add_f32 v35, v35, v39
	v_dual_fmamk_f32 v39, v10, 0xbf7e222b, v38 :: v_dual_add_f32 v76, v27, v31
	v_dual_fmac_f32 v38, 0x3f7e222b, v10 :: v_dual_add_f32 v39, v39, v43
	s_delay_alu instid0(VALU_DEP_1) | instskip(SKIP_4) | instid1(VALU_DEP_3)
	v_add_f32_e32 v38, v38, v47
	v_add_f32_e32 v71, v71, v75
	v_fmamk_f32 v75, v73, 0x3f116cb1, v22
	v_fma_f32 v22, 0x3f116cb1, v73, -v22
	v_mul_f32_e32 v47, 0x3e750f2a, v74
	v_add_f32_e32 v43, v75, v65
	v_sub_f32_e32 v75, v31, v27
	s_delay_alu instid0(VALU_DEP_3)
	v_dual_add_f32 v65, v22, v18 :: v_dual_fmamk_f32 v18, v73, 0xbf788fa5, v47
	v_fmamk_f32 v15, v73, 0x3df6dbef, v34
	v_fma_f32 v34, 0x3df6dbef, v73, -v34
	v_mul_f32_e32 v22, 0x3eedf032, v74
	v_fma_f32 v47, 0xbf788fa5, v73, -v47
	v_add_f32_e32 v66, v18, v66
	v_dual_add_f32 v15, v15, v62 :: v_dual_mul_f32 v62, 0x3f116cb1, v23
	v_add_f32_e32 v34, v34, v42
	v_fmamk_f32 v18, v73, 0x3f62ad3f, v22
	v_fma_f32 v22, 0x3f62ad3f, v73, -v22
	v_add_f32_e32 v46, v47, v46
	v_fmamk_f32 v42, v10, 0x3f52af12, v62
	v_fmac_f32_e32 v62, 0xbf52af12, v10
	s_delay_alu instid0(VALU_DEP_4) | instskip(SKIP_1) | instid1(VALU_DEP_4)
	v_add_f32_e32 v70, v22, v70
	v_mul_f32_e32 v22, 0xbf788fa5, v76
	v_add_f32_e32 v42, v42, v51
	s_delay_alu instid0(VALU_DEP_4) | instskip(SKIP_1) | instid1(VALU_DEP_2)
	v_dual_mul_f32 v51, 0xbf788fa5, v23 :: v_dual_add_f32 v62, v62, v64
	v_mul_f32_e32 v27, 0xbf3f9e67, v76
	v_fmamk_f32 v64, v10, 0xbe750f2a, v51
	v_fmac_f32_e32 v51, 0x3e750f2a, v10
	s_delay_alu instid0(VALU_DEP_2) | instskip(SKIP_1) | instid1(VALU_DEP_3)
	v_add_f32_e32 v64, v64, v6
	v_mul_f32_e32 v6, 0x3f62ad3f, v23
	v_add_f32_e32 v47, v51, v63
	v_add_f32_e32 v51, v18, v7
	v_mul_f32_e32 v7, 0xbf6f5d39, v74
	v_mul_f32_e32 v63, 0xbeb58ec6, v23
	v_fmamk_f32 v18, v10, 0xbeedf032, v6
	v_fmac_f32_e32 v6, 0x3eedf032, v10
	s_delay_alu instid0(VALU_DEP_4) | instskip(NEXT) | instid1(VALU_DEP_4)
	v_fmamk_f32 v23, v73, 0xbeb58ec6, v7
	v_fmamk_f32 v74, v10, 0x3f6f5d39, v63
	s_delay_alu instid0(VALU_DEP_4) | instskip(NEXT) | instid1(VALU_DEP_4)
	v_add_f32_e32 v68, v18, v68
	v_add_f32_e32 v71, v6, v71
	v_mul_f32_e32 v18, 0xbe750f2a, v75
	v_add_f32_e32 v72, v23, v72
	v_fma_f32 v6, 0xbeb58ec6, v73, -v7
	v_mul_f32_e32 v23, 0x3eedf032, v75
	v_sub_f32_e32 v73, v30, v26
	v_add_f32_e32 v77, v26, v30
	v_fmac_f32_e32 v63, 0xbf6f5d39, v10
	s_delay_alu instid0(VALU_DEP_3) | instskip(NEXT) | instid1(VALU_DEP_3)
	v_dual_add_f32 v61, v6, v61 :: v_dual_fmamk_f32 v10, v73, 0x3e750f2a, v22
	v_fmamk_f32 v7, v77, 0xbf788fa5, v18
	v_fma_f32 v18, 0xbf788fa5, v77, -v18
	s_delay_alu instid0(VALU_DEP_2) | instskip(NEXT) | instid1(VALU_DEP_4)
	v_dual_add_f32 v6, v7, v19 :: v_dual_mul_f32 v19, 0x3f62ad3f, v76
	v_add_f32_e32 v7, v10, v11
	s_delay_alu instid0(VALU_DEP_3) | instskip(NEXT) | instid1(VALU_DEP_3)
	v_dual_add_f32 v10, v18, v35 :: v_dual_mul_f32 v35, 0x3f116cb1, v76
	v_fmamk_f32 v18, v73, 0xbeedf032, v19
	v_fmamk_f32 v26, v77, 0x3f62ad3f, v23
	v_fmac_f32_e32 v22, 0xbe750f2a, v73
	v_fmac_f32_e32 v19, 0x3eedf032, v73
	s_delay_alu instid0(VALU_DEP_2) | instskip(SKIP_4) | instid1(VALU_DEP_4)
	v_add_f32_e32 v11, v22, v14
	v_fma_f32 v22, 0x3f62ad3f, v77, -v23
	v_add_f32_e32 v14, v26, v15
	v_add_f32_e32 v15, v18, v39
	v_dual_add_f32 v19, v19, v38 :: v_dual_fmamk_f32 v26, v73, 0x3f29c268, v27
	v_add_f32_e32 v18, v22, v34
	v_mul_f32_e32 v34, 0x3f52af12, v75
	v_fmamk_f32 v38, v73, 0xbf52af12, v35
	s_delay_alu instid0(VALU_DEP_2) | instskip(SKIP_1) | instid1(VALU_DEP_1)
	v_fmamk_f32 v31, v77, 0x3f116cb1, v34
	v_fma_f32 v34, 0x3f116cb1, v77, -v34
	v_dual_mul_f32 v23, 0xbf29c268, v75 :: v_dual_add_f32 v34, v34, v46
	s_delay_alu instid0(VALU_DEP_1) | instskip(SKIP_2) | instid1(VALU_DEP_3)
	v_dual_add_f32 v67, v74, v67 :: v_dual_fmamk_f32 v22, v77, 0xbf3f9e67, v23
	v_fma_f32 v30, 0xbf3f9e67, v77, -v23
	v_add_f32_e32 v23, v26, v42
	v_add_f32_e32 v22, v22, v43
	s_delay_alu instid0(VALU_DEP_3) | instskip(SKIP_3) | instid1(VALU_DEP_2)
	v_add_f32_e32 v26, v30, v65
	v_dual_add_f32 v30, v31, v66 :: v_dual_add_f32 v31, v38, v64
	v_mul_f32_e32 v38, 0xbf6f5d39, v75
	v_mul_f32_e32 v43, 0xbeb58ec6, v76
	v_fmamk_f32 v39, v77, 0xbeb58ec6, v38
	s_delay_alu instid0(VALU_DEP_2) | instskip(SKIP_1) | instid1(VALU_DEP_3)
	v_fmamk_f32 v42, v73, 0x3f6f5d39, v43
	v_fma_f32 v46, 0xbeb58ec6, v77, -v38
	v_dual_fmac_f32 v43, 0xbf6f5d39, v73 :: v_dual_add_f32 v38, v39, v51
	v_mul_f32_e32 v51, 0x3df6dbef, v76
	s_delay_alu instid0(VALU_DEP_4) | instskip(NEXT) | instid1(VALU_DEP_4)
	v_add_f32_e32 v39, v42, v68
	v_dual_add_f32 v42, v46, v70 :: v_dual_fmac_f32 v27, 0xbf29c268, v73
	s_delay_alu instid0(VALU_DEP_4) | instskip(NEXT) | instid1(VALU_DEP_2)
	v_add_f32_e32 v43, v43, v71
	v_add_f32_e32 v27, v27, v62
	v_dual_add_f32 v62, v63, v69 :: v_dual_fmamk_f32 v63, v73, 0xbf7e222b, v51
	v_fmac_f32_e32 v51, 0x3f7e222b, v73
	s_delay_alu instid0(VALU_DEP_1)
	v_dual_add_f32 v62, v51, v62 :: v_dual_fmac_f32 v35, 0x3f52af12, v73
	v_mad_u32_u24 v51, 0x68, v50, v56
	ds_store_2addr_b64 v51, v[2:3], v[6:7] offset1:1
	ds_store_2addr_b64 v51, v[14:15], v[22:23] offset0:2 offset1:3
	v_add_f32_e32 v35, v35, v47
	v_mul_f32_e32 v47, 0x3f7e222b, v75
	s_delay_alu instid0(VALU_DEP_1) | instskip(SKIP_1) | instid1(VALU_DEP_2)
	v_fmamk_f32 v46, v77, 0x3df6dbef, v47
	v_fma_f32 v64, 0x3df6dbef, v77, -v47
	v_dual_add_f32 v47, v63, v67 :: v_dual_add_f32 v46, v46, v72
	s_delay_alu instid0(VALU_DEP_2)
	v_add_f32_e32 v61, v64, v61
	ds_store_2addr_b64 v51, v[30:31], v[38:39] offset0:4 offset1:5
	ds_store_2addr_b64 v51, v[46:47], v[61:62] offset0:6 offset1:7
	;; [unrolled: 1-line block ×4, first 2 shown]
	ds_store_b64 v51, v[10:11] offset:96
	v_cmpx_eq_u32_e32 0, v50
	s_cbranch_execz .LBB0_15
; %bb.14:
	v_dual_add_f32 v66, v55, v45 :: v_dual_sub_f32 v11, v40, v4
	v_dual_sub_f32 v18, v44, v54 :: v_dual_add_f32 v65, v5, v41
	v_dual_add_f32 v63, v9, v37 :: v_dual_sub_f32 v14, v36, v8
	s_delay_alu instid0(VALU_DEP_3) | instskip(NEXT) | instid1(VALU_DEP_2)
	v_dual_mul_f32 v35, 0xbf788fa5, v66 :: v_dual_sub_f32 v10, v32, v12
	v_dual_add_f32 v61, v13, v33 :: v_dual_mul_f32 v42, 0xbf3f9e67, v63
	v_add_f32_e32 v19, v54, v44
	s_delay_alu instid0(VALU_DEP_3) | instskip(SKIP_1) | instid1(VALU_DEP_4)
	v_fmamk_f32 v2, v18, 0x3e750f2a, v35
	v_mul_f32_e32 v39, 0x3f62ad3f, v65
	v_dual_sub_f32 v67, v45, v55 :: v_dual_fmamk_f32 v6, v14, 0x3f29c268, v42
	v_sub_f32_e32 v68, v41, v5
	s_delay_alu instid0(VALU_DEP_3) | instskip(SKIP_1) | instid1(VALU_DEP_4)
	v_dual_add_f32 v2, v1, v2 :: v_dual_fmamk_f32 v3, v11, 0xbeedf032, v39
	v_mul_f32_e32 v27, 0x3f116cb1, v61
	v_dual_mul_f32 v43, 0xbe750f2a, v67 :: v_dual_add_f32 v22, v4, v40
	v_dual_add_f32 v62, v17, v29 :: v_dual_sub_f32 v15, v28, v16
	s_delay_alu instid0(VALU_DEP_3) | instskip(SKIP_1) | instid1(VALU_DEP_2)
	v_dual_add_f32 v2, v3, v2 :: v_dual_fmamk_f32 v3, v10, 0xbf52af12, v27
	v_dual_sub_f32 v70, v33, v13 :: v_dual_add_f32 v23, v8, v36
	v_dual_sub_f32 v69, v37, v9 :: v_dual_add_f32 v2, v6, v2
	v_fmamk_f32 v6, v19, 0xbf788fa5, v43
	v_dual_mul_f32 v46, 0x3eedf032, v68 :: v_dual_add_f32 v45, v1, v45
	s_delay_alu instid0(VALU_DEP_3) | instskip(NEXT) | instid1(VALU_DEP_2)
	v_dual_mul_f32 v47, 0xbf29c268, v69 :: v_dual_add_f32 v2, v3, v2
	v_dual_add_f32 v3, v0, v6 :: v_dual_fmamk_f32 v6, v22, 0x3f62ad3f, v46
	v_mul_f32_e32 v30, 0xbeb58ec6, v62
	v_add_f32_e32 v64, v21, v25
	v_dual_add_f32 v26, v12, v32 :: v_dual_mul_f32 v51, 0x3f52af12, v70
	s_delay_alu instid0(VALU_DEP_4) | instskip(NEXT) | instid1(VALU_DEP_4)
	v_add_f32_e32 v3, v6, v3
	v_fmamk_f32 v7, v15, 0x3f6f5d39, v30
	v_dual_fmamk_f32 v6, v23, 0xbf3f9e67, v47 :: v_dual_sub_f32 v71, v29, v17
	v_mul_f32_e32 v31, 0x3df6dbef, v64
	v_sub_f32_e32 v34, v24, v20
	s_delay_alu instid0(VALU_DEP_3) | instskip(SKIP_2) | instid1(VALU_DEP_4)
	v_dual_add_f32 v44, v0, v44 :: v_dual_add_f32 v3, v6, v3
	v_add_f32_e32 v2, v7, v2
	v_dual_add_f32 v38, v16, v28 :: v_dual_add_f32 v7, v45, v41
	v_fmamk_f32 v41, v34, 0xbf7e222b, v31
	v_fmamk_f32 v6, v26, 0x3f116cb1, v51
	v_dual_mul_f32 v45, 0xbf3f9e67, v66 :: v_dual_add_f32 v40, v44, v40
	s_delay_alu instid0(VALU_DEP_4) | instskip(NEXT) | instid1(VALU_DEP_3)
	v_dual_mul_f32 v72, 0xbf6f5d39, v71 :: v_dual_add_f32 v7, v7, v37
	v_dual_add_f32 v6, v6, v3 :: v_dual_add_f32 v3, v41, v2
	v_mul_f32_e32 v41, 0x3df6dbef, v65
	s_delay_alu instid0(VALU_DEP_3) | instskip(NEXT) | instid1(VALU_DEP_4)
	v_dual_fmamk_f32 v2, v18, 0x3f29c268, v45 :: v_dual_add_f32 v7, v7, v33
	v_dual_fmamk_f32 v44, v38, 0xbeb58ec6, v72 :: v_dual_add_f32 v37, v40, v36
	s_delay_alu instid0(VALU_DEP_3) | instskip(SKIP_1) | instid1(VALU_DEP_4)
	v_dual_add_f32 v36, v20, v24 :: v_dual_fmamk_f32 v73, v11, 0xbf7e222b, v41
	v_dual_sub_f32 v40, v25, v21 :: v_dual_mul_f32 v75, 0xbf29c268, v67
	v_add_f32_e32 v2, v1, v2
	s_delay_alu instid0(VALU_DEP_4) | instskip(SKIP_1) | instid1(VALU_DEP_3)
	v_add_f32_e32 v6, v44, v6
	v_dual_add_f32 v32, v37, v32 :: v_dual_add_f32 v7, v7, v29
	v_dual_mul_f32 v33, 0x3f7e222b, v40 :: v_dual_add_f32 v2, v73, v2
	v_mul_f32_e32 v74, 0x3f116cb1, v63
	v_fmamk_f32 v77, v19, 0xbf3f9e67, v75
	v_mul_f32_e32 v29, 0xbeb58ec6, v66
	v_dual_mul_f32 v88, 0xbf7e222b, v70 :: v_dual_mul_f32 v91, 0xbf7e222b, v67
	s_delay_alu instid0(VALU_DEP_4) | instskip(SKIP_2) | instid1(VALU_DEP_3)
	v_fmamk_f32 v73, v14, 0x3f52af12, v74
	v_dual_mul_f32 v98, 0xbf3f9e67, v64 :: v_dual_mul_f32 v105, 0xbf3f9e67, v61
	v_fmac_f32_e32 v35, 0xbe750f2a, v18
	v_dual_mul_f32 v110, 0x3f62ad3f, v64 :: v_dual_add_f32 v73, v73, v2
	v_mul_f32_e32 v78, 0x3f7e222b, v68
	v_fmamk_f32 v76, v36, 0x3df6dbef, v33
	v_add_f32_e32 v28, v32, v28
	v_dual_mul_f32 v32, 0x3f62ad3f, v62 :: v_dual_add_f32 v7, v7, v25
	s_delay_alu instid0(VALU_DEP_3) | instskip(SKIP_4) | instid1(VALU_DEP_3)
	v_dual_fmamk_f32 v37, v22, 0x3df6dbef, v78 :: v_dual_add_f32 v2, v76, v6
	v_add_f32_e32 v6, v0, v77
	v_mul_f32_e32 v76, 0xbf52af12, v69
	v_dual_mul_f32 v77, 0x3e750f2a, v70 :: v_dual_add_f32 v24, v28, v24
	v_mul_f32_e32 v44, 0xbf788fa5, v61
	v_dual_add_f32 v6, v37, v6 :: v_dual_fmamk_f32 v37, v23, 0x3f116cb1, v76
	s_delay_alu instid0(VALU_DEP_3) | instskip(SKIP_2) | instid1(VALU_DEP_4)
	v_dual_fmamk_f32 v25, v15, 0xbeedf032, v32 :: v_dual_add_f32 v20, v24, v20
	v_mul_f32_e32 v81, 0x3f62ad3f, v63
	v_dual_add_f32 v7, v7, v21 :: v_dual_mul_f32 v82, 0x3eedf032, v71
	v_dual_add_f32 v6, v37, v6 :: v_dual_fmamk_f32 v37, v26, 0xbf788fa5, v77
	v_fmamk_f32 v79, v10, 0xbe750f2a, v44
	v_mul_f32_e32 v83, 0xbeb58ec6, v64
	s_delay_alu instid0(VALU_DEP_4) | instskip(NEXT) | instid1(VALU_DEP_3)
	v_dual_fmamk_f32 v24, v14, 0xbeedf032, v81 :: v_dual_add_f32 v7, v7, v17
	v_dual_add_f32 v6, v37, v6 :: v_dual_add_f32 v73, v79, v73
	v_fmamk_f32 v79, v18, 0x3f6f5d39, v29
	v_dual_fmamk_f32 v37, v38, 0x3f62ad3f, v82 :: v_dual_add_f32 v16, v20, v16
	s_delay_alu instid0(VALU_DEP_4) | instskip(NEXT) | instid1(VALU_DEP_3)
	v_dual_mul_f32 v84, 0xbf6f5d39, v40 :: v_dual_add_f32 v13, v7, v13
	v_dual_add_f32 v79, v1, v79 :: v_dual_mul_f32 v28, 0xbf3f9e67, v65
	v_add_f32_e32 v25, v25, v73
	s_delay_alu instid0(VALU_DEP_4) | instskip(SKIP_1) | instid1(VALU_DEP_4)
	v_dual_add_f32 v6, v37, v6 :: v_dual_fmamk_f32 v73, v34, 0x3f6f5d39, v83
	v_add_f32_e32 v12, v16, v12
	v_fmamk_f32 v80, v11, 0xbf29c268, v28
	v_mul_f32_e32 v86, 0x3f29c268, v68
	v_dual_fmamk_f32 v16, v36, 0xbeb58ec6, v84 :: v_dual_add_f32 v9, v13, v9
	v_add_f32_e32 v7, v73, v25
	s_delay_alu instid0(VALU_DEP_4) | instskip(SKIP_3) | instid1(VALU_DEP_3)
	v_add_f32_e32 v21, v80, v79
	v_mul_f32_e32 v79, 0x3df6dbef, v61
	v_dual_mul_f32 v73, 0x3df6dbef, v66 :: v_dual_add_f32 v8, v12, v8
	v_add_f32_e32 v5, v9, v5
	v_dual_add_f32 v21, v24, v21 :: v_dual_fmamk_f32 v24, v10, 0x3f7e222b, v79
	v_mul_f32_e32 v80, 0xbf6f5d39, v67
	v_dual_mul_f32 v85, 0x3f116cb1, v64 :: v_dual_add_f32 v6, v16, v6
	s_delay_alu instid0(VALU_DEP_3) | instskip(NEXT) | instid1(VALU_DEP_3)
	v_dual_fmamk_f32 v16, v18, 0x3f7e222b, v73 :: v_dual_add_f32 v21, v24, v21
	v_fmamk_f32 v20, v19, 0xbeb58ec6, v80
	v_mul_f32_e32 v37, 0xbf788fa5, v62
	v_fmamk_f32 v24, v22, 0xbf3f9e67, v86
	s_delay_alu instid0(VALU_DEP_4) | instskip(NEXT) | instid1(VALU_DEP_4)
	v_add_f32_e32 v12, v1, v16
	v_dual_add_f32 v35, v1, v35 :: v_dual_add_f32 v20, v0, v20
	s_delay_alu instid0(VALU_DEP_4) | instskip(SKIP_1) | instid1(VALU_DEP_3)
	v_dual_fmamk_f32 v17, v15, 0xbe750f2a, v37 :: v_dual_add_f32 v4, v8, v4
	v_mul_f32_e32 v93, 0xbe750f2a, v68
	v_dual_add_f32 v5, v5, v55 :: v_dual_add_f32 v20, v24, v20
	v_mul_f32_e32 v87, 0x3eedf032, v69
	s_delay_alu instid0(VALU_DEP_4) | instskip(SKIP_2) | instid1(VALU_DEP_4)
	v_dual_add_f32 v17, v17, v21 :: v_dual_add_f32 v4, v4, v54
	v_mul_f32_e32 v54, 0x3f6f5d39, v69
	v_mul_f32_e32 v97, 0xbf52af12, v71
	v_fmamk_f32 v21, v23, 0x3f62ad3f, v87
	v_mul_f32_e32 v99, 0x3f116cb1, v66
	v_mul_f32_e32 v106, 0xbe750f2a, v69
	;; [unrolled: 1-line block ×3, first 2 shown]
	s_delay_alu instid0(VALU_DEP_4)
	v_dual_fmac_f32 v39, 0x3eedf032, v11 :: v_dual_add_f32 v20, v21, v20
	v_fmamk_f32 v21, v26, 0x3df6dbef, v88
	v_mul_f32_e32 v89, 0xbf788fa5, v65
	v_fma_f32 v46, 0x3f62ad3f, v22, -v46
	v_fmac_f32_e32 v27, 0x3f52af12, v10
	v_fma_f32 v33, 0x3df6dbef, v36, -v33
	v_add_f32_e32 v16, v21, v20
	v_dual_mul_f32 v90, 0x3e750f2a, v71 :: v_dual_fmamk_f32 v13, v11, 0x3e750f2a, v89
	v_fmac_f32_e32 v45, 0xbf29c268, v18
	v_fmac_f32_e32 v89, 0xbe750f2a, v11
	;; [unrolled: 1-line block ×3, first 2 shown]
	s_delay_alu instid0(VALU_DEP_4) | instskip(SKIP_2) | instid1(VALU_DEP_3)
	v_fmamk_f32 v20, v38, 0xbf788fa5, v90
	v_dual_add_f32 v12, v13, v12 :: v_dual_fmamk_f32 v13, v19, 0x3df6dbef, v91
	v_fmac_f32_e32 v41, 0x3f7e222b, v11
	v_dual_add_f32 v35, v39, v35 :: v_dual_add_f32 v16, v20, v16
	s_delay_alu instid0(VALU_DEP_3)
	v_dual_fmamk_f32 v20, v34, 0xbf52af12, v85 :: v_dual_add_f32 v9, v0, v13
	v_fmamk_f32 v13, v22, 0xbf788fa5, v93
	v_mul_f32_e32 v92, 0xbeb58ec6, v63
	v_fma_f32 v39, 0xbf3f9e67, v23, -v47
	v_fmac_f32_e32 v85, 0x3f52af12, v34
	v_mul_f32_e32 v109, 0x3f7e222b, v71
	v_add_f32_e32 v9, v13, v9
	v_fmamk_f32 v13, v23, 0xbeb58ec6, v54
	v_fmamk_f32 v8, v14, 0xbf6f5d39, v92
	v_dual_mul_f32 v71, 0xbf29c268, v71 :: v_dual_fmac_f32 v42, 0xbf29c268, v14
	v_mul_f32_e32 v111, 0x3eedf032, v40
	s_delay_alu instid0(VALU_DEP_3) | instskip(SKIP_4) | instid1(VALU_DEP_4)
	v_dual_add_f32 v13, v13, v9 :: v_dual_add_f32 v8, v8, v12
	v_mul_f32_e32 v95, 0x3eedf032, v70
	v_mul_f32_e32 v94, 0x3f62ad3f, v61
	v_dual_add_f32 v9, v20, v17 :: v_dual_fmamk_f32 v20, v38, 0x3f116cb1, v97
	v_mul_f32_e32 v55, 0x3f52af12, v40
	v_fmamk_f32 v21, v26, 0x3f62ad3f, v95
	s_delay_alu instid0(VALU_DEP_4) | instskip(SKIP_2) | instid1(VALU_DEP_4)
	v_fmamk_f32 v12, v10, 0xbeedf032, v94
	v_mul_f32_e32 v96, 0x3f116cb1, v62
	v_fmamk_f32 v112, v36, 0x3f62ad3f, v111
	v_dual_fmac_f32 v92, 0x3f6f5d39, v14 :: v_dual_add_f32 v13, v21, v13
	s_delay_alu instid0(VALU_DEP_3)
	v_dual_add_f32 v8, v12, v8 :: v_dual_fmamk_f32 v17, v15, 0x3f52af12, v96
	v_fmamk_f32 v21, v34, 0x3f29c268, v98
	v_fmac_f32_e32 v98, 0xbf29c268, v34
	v_fmac_f32_e32 v73, 0xbf7e222b, v18
	;; [unrolled: 1-line block ×3, first 2 shown]
	v_dual_add_f32 v17, v17, v8 :: v_dual_fmamk_f32 v12, v36, 0x3f116cb1, v55
	v_fmac_f32_e32 v28, 0x3f29c268, v11
	v_fmac_f32_e32 v96, 0xbf52af12, v15
	;; [unrolled: 1-line block ×3, first 2 shown]
	s_delay_alu instid0(VALU_DEP_4)
	v_add_f32_e32 v8, v12, v16
	v_fmamk_f32 v12, v18, 0x3f52af12, v99
	v_dual_mul_f32 v101, 0xbf52af12, v67 :: v_dual_add_f32 v16, v20, v13
	v_fmamk_f32 v25, v34, 0xbeedf032, v110
	v_mul_f32_e32 v104, 0xbf6f5d39, v68
	v_mul_f32_e32 v100, 0xbeb58ec6, v65
	v_add_f32_e32 v12, v1, v12
	v_dual_fmamk_f32 v20, v19, 0x3f116cb1, v101 :: v_dual_add_f32 v13, v21, v17
	s_delay_alu instid0(VALU_DEP_4) | instskip(NEXT) | instid1(VALU_DEP_4)
	v_fmamk_f32 v21, v22, 0xbeb58ec6, v104
	v_fmamk_f32 v17, v11, 0x3f6f5d39, v100
	s_delay_alu instid0(VALU_DEP_3)
	v_dual_mul_f32 v67, 0xbeedf032, v67 :: v_dual_add_f32 v20, v0, v20
	v_mul_f32_e32 v107, 0x3df6dbef, v62
	v_mul_f32_e32 v62, 0xbf3f9e67, v62
	;; [unrolled: 1-line block ×4, first 2 shown]
	v_dual_add_f32 v20, v21, v20 :: v_dual_fmamk_f32 v21, v23, 0xbf788fa5, v106
	v_dual_add_f32 v12, v17, v12 :: v_dual_fmamk_f32 v17, v14, 0x3e750f2a, v102
	v_fmamk_f32 v113, v15, 0x3f29c268, v62
	v_mul_f32_e32 v103, 0xbf29c268, v40
	s_delay_alu instid0(VALU_DEP_4) | instskip(NEXT) | instid1(VALU_DEP_4)
	v_dual_add_f32 v20, v21, v20 :: v_dual_fmamk_f32 v21, v26, 0xbf3f9e67, v108
	v_dual_add_f32 v12, v17, v12 :: v_dual_fmamk_f32 v17, v10, 0xbf29c268, v105
	s_delay_alu instid0(VALU_DEP_3) | instskip(SKIP_1) | instid1(VALU_DEP_4)
	v_fmamk_f32 v24, v36, 0xbf3f9e67, v103
	v_mul_f32_e32 v70, 0xbf6f5d39, v70
	v_dual_add_f32 v20, v21, v20 :: v_dual_fmamk_f32 v21, v38, 0x3df6dbef, v109
	s_delay_alu instid0(VALU_DEP_4) | instskip(SKIP_2) | instid1(VALU_DEP_4)
	v_dual_add_f32 v12, v17, v12 :: v_dual_fmamk_f32 v17, v15, 0xbf7e222b, v107
	v_mul_f32_e32 v65, 0x3f116cb1, v65
	v_mul_f32_e32 v40, 0xbe750f2a, v40
	v_dual_add_f32 v20, v21, v20 :: v_dual_fmac_f32 v99, 0xbf52af12, v18
	s_delay_alu instid0(VALU_DEP_4)
	v_add_f32_e32 v17, v17, v12
	v_add_f32_e32 v12, v24, v16
	v_fmamk_f32 v24, v19, 0x3f62ad3f, v67
	v_fmamk_f32 v21, v11, 0x3f52af12, v65
	v_fmac_f32_e32 v65, 0xbf52af12, v11
	v_add_f32_e32 v17, v25, v17
	s_delay_alu instid0(VALU_DEP_4) | instskip(SKIP_4) | instid1(VALU_DEP_4)
	v_dual_fmamk_f32 v25, v22, 0x3f116cb1, v68 :: v_dual_add_f32 v24, v0, v24
	v_mul_f32_e32 v69, 0xbf7e222b, v69
	v_fmac_f32_e32 v107, 0x3f7e222b, v15
	v_fmac_f32_e32 v102, 0xbe750f2a, v14
	;; [unrolled: 1-line block ×3, first 2 shown]
	v_dual_add_f32 v24, v25, v24 :: v_dual_fmamk_f32 v25, v23, 0x3df6dbef, v69
	v_fma_f32 v11, 0x3f116cb1, v22, -v68
	v_fmac_f32_e32 v110, 0x3eedf032, v34
	s_delay_alu instid0(VALU_DEP_3) | instskip(SKIP_1) | instid1(VALU_DEP_1)
	v_dual_add_f32 v24, v25, v24 :: v_dual_fmamk_f32 v25, v26, 0xbeb58ec6, v70
	v_mul_f32_e32 v66, 0x3f62ad3f, v66
	v_fmamk_f32 v16, v18, 0x3eedf032, v66
	s_delay_alu instid0(VALU_DEP_1) | instskip(NEXT) | instid1(VALU_DEP_1)
	v_dual_add_f32 v16, v1, v16 :: v_dual_mul_f32 v63, 0x3df6dbef, v63
	v_dual_add_f32 v16, v21, v16 :: v_dual_fmamk_f32 v21, v14, 0x3f7e222b, v63
	v_mul_f32_e32 v61, 0xbeb58ec6, v61
	s_delay_alu instid0(VALU_DEP_2) | instskip(NEXT) | instid1(VALU_DEP_2)
	v_dual_fmac_f32 v63, 0xbf7e222b, v14 :: v_dual_add_f32 v16, v21, v16
	v_fmamk_f32 v21, v10, 0x3f6f5d39, v61
	v_fmac_f32_e32 v61, 0xbf6f5d39, v10
	s_delay_alu instid0(VALU_DEP_2) | instskip(SKIP_1) | instid1(VALU_DEP_2)
	v_add_f32_e32 v21, v21, v16
	v_add_f32_e32 v16, v112, v20
	;; [unrolled: 1-line block ×4, first 2 shown]
	v_fma_f32 v24, 0xbf788fa5, v19, -v43
	v_fmamk_f32 v25, v38, 0xbf3f9e67, v71
	v_mul_f32_e32 v43, 0xbf788fa5, v64
	v_fmac_f32_e32 v66, 0xbeedf032, v18
	v_fmac_f32_e32 v62, 0xbf29c268, v15
	s_delay_alu instid0(VALU_DEP_4) | instskip(NEXT) | instid1(VALU_DEP_4)
	v_dual_add_f32 v24, v0, v24 :: v_dual_add_f32 v25, v25, v21
	v_fmamk_f32 v21, v34, 0x3e750f2a, v43
	s_delay_alu instid0(VALU_DEP_2) | instskip(NEXT) | instid1(VALU_DEP_2)
	v_add_f32_e32 v24, v46, v24
	v_dual_add_f32 v21, v21, v20 :: v_dual_add_f32 v20, v42, v35
	v_fma_f32 v35, 0x3f116cb1, v26, -v51
	s_delay_alu instid0(VALU_DEP_3) | instskip(NEXT) | instid1(VALU_DEP_3)
	v_dual_add_f32 v24, v39, v24 :: v_dual_fmac_f32 v43, 0xbe750f2a, v34
	v_add_f32_e32 v27, v27, v20
	s_delay_alu instid0(VALU_DEP_2) | instskip(SKIP_1) | instid1(VALU_DEP_1)
	v_add_f32_e32 v24, v35, v24
	v_fma_f32 v35, 0xbeb58ec6, v38, -v72
	v_dual_fmamk_f32 v39, v36, 0xbf788fa5, v40 :: v_dual_add_f32 v24, v35, v24
	s_delay_alu instid0(VALU_DEP_1) | instskip(SKIP_1) | instid1(VALU_DEP_3)
	v_add_f32_e32 v20, v39, v25
	v_fma_f32 v35, 0x3df6dbef, v22, -v78
	v_add_f32_e32 v24, v33, v24
	v_add_f32_e32 v33, v1, v73
	v_fmac_f32_e32 v81, 0x3eedf032, v14
	v_fmac_f32_e32 v29, 0xbf6f5d39, v18
	;; [unrolled: 1-line block ×3, first 2 shown]
	v_add_f32_e32 v42, v1, v45
	v_fma_f32 v18, 0x3f62ad3f, v19, -v67
	s_delay_alu instid0(VALU_DEP_4) | instskip(NEXT) | instid1(VALU_DEP_1)
	v_add_f32_e32 v29, v1, v29
	v_dual_fmac_f32 v31, 0x3f7e222b, v34 :: v_dual_add_f32 v28, v28, v29
	v_fmac_f32_e32 v30, 0xbf6f5d39, v15
	v_fma_f32 v29, 0x3f62ad3f, v38, -v82
	s_delay_alu instid0(VALU_DEP_2) | instskip(SKIP_1) | instid1(VALU_DEP_2)
	v_dual_add_f32 v25, v30, v27 :: v_dual_add_f32 v30, v41, v42
	v_fma_f32 v27, 0xbf3f9e67, v19, -v75
	v_add_f32_e32 v25, v31, v25
	v_fma_f32 v31, 0x3f116cb1, v23, -v76
	s_delay_alu instid0(VALU_DEP_3) | instskip(NEXT) | instid1(VALU_DEP_1)
	v_dual_add_f32 v27, v0, v27 :: v_dual_add_f32 v30, v74, v30
	v_dual_fmac_f32 v44, 0x3e750f2a, v10 :: v_dual_add_f32 v27, v35, v27
	v_fma_f32 v35, 0x3df6dbef, v26, -v88
	s_delay_alu instid0(VALU_DEP_2) | instskip(SKIP_1) | instid1(VALU_DEP_2)
	v_dual_add_f32 v30, v44, v30 :: v_dual_add_f32 v27, v31, v27
	v_fma_f32 v31, 0xbf788fa5, v26, -v77
	v_add_f32_e32 v30, v32, v30
	s_delay_alu instid0(VALU_DEP_2) | instskip(SKIP_1) | instid1(VALU_DEP_2)
	v_dual_add_f32 v32, v81, v28 :: v_dual_add_f32 v27, v31, v27
	v_fma_f32 v31, 0xbeb58ec6, v19, -v80
	v_add_f32_e32 v27, v29, v27
	s_delay_alu instid0(VALU_DEP_2) | instskip(NEXT) | instid1(VALU_DEP_4)
	v_add_f32_e32 v29, v0, v31
	v_add_f32_e32 v31, v79, v32
	v_fma_f32 v32, 0xbeb58ec6, v36, -v84
	s_delay_alu instid0(VALU_DEP_1) | instskip(SKIP_1) | instid1(VALU_DEP_2)
	v_dual_add_f32 v27, v32, v27 :: v_dual_add_f32 v32, v89, v33
	v_fma_f32 v33, 0xbf788fa5, v38, -v90
	v_add_f32_e32 v32, v92, v32
	s_delay_alu instid0(VALU_DEP_1) | instskip(NEXT) | instid1(VALU_DEP_1)
	v_dual_add_f32 v32, v94, v32 :: v_dual_fmac_f32 v37, 0x3e750f2a, v15
	v_dual_add_f32 v32, v96, v32 :: v_dual_add_f32 v31, v37, v31
	v_fmac_f32_e32 v83, 0xbf6f5d39, v34
	v_fma_f32 v37, 0x3f116cb1, v36, -v55
	s_delay_alu instid0(VALU_DEP_2) | instskip(SKIP_1) | instid1(VALU_DEP_1)
	v_add_f32_e32 v28, v83, v30
	v_fma_f32 v30, 0xbf3f9e67, v22, -v86
	v_add_f32_e32 v29, v30, v29
	v_fma_f32 v30, 0x3f62ad3f, v23, -v87
	s_delay_alu instid0(VALU_DEP_1) | instskip(SKIP_1) | instid1(VALU_DEP_2)
	v_dual_add_f32 v29, v30, v29 :: v_dual_add_f32 v30, v85, v31
	v_fma_f32 v31, 0x3df6dbef, v19, -v91
	v_add_f32_e32 v29, v35, v29
	v_fma_f32 v35, 0xbf788fa5, v22, -v93
	s_delay_alu instid0(VALU_DEP_3) | instskip(NEXT) | instid1(VALU_DEP_3)
	v_add_f32_e32 v31, v0, v31
	v_add_f32_e32 v29, v33, v29
	s_delay_alu instid0(VALU_DEP_1) | instskip(SKIP_1) | instid1(VALU_DEP_1)
	v_add_f32_e32 v29, v37, v29
	v_fma_f32 v37, 0x3f116cb1, v19, -v101
	v_add_f32_e32 v19, v0, v37
	v_fma_f32 v37, 0xbeb58ec6, v22, -v104
	v_add_f32_e32 v0, v0, v18
	s_delay_alu instid0(VALU_DEP_2) | instskip(SKIP_1) | instid1(VALU_DEP_3)
	v_add_f32_e32 v18, v37, v19
	v_fma_f32 v19, 0xbf788fa5, v23, -v106
	v_add_f32_e32 v0, v11, v0
	v_fma_f32 v11, 0x3df6dbef, v23, -v69
	v_add_f32_e32 v33, v1, v99
	v_add_f32_e32 v1, v1, v66
	;; [unrolled: 1-line block ×3, first 2 shown]
	v_fma_f32 v18, 0xbf3f9e67, v26, -v108
	s_delay_alu instid0(VALU_DEP_4) | instskip(NEXT) | instid1(VALU_DEP_4)
	v_dual_add_f32 v0, v11, v0 :: v_dual_add_f32 v33, v100, v33
	v_add_f32_e32 v1, v65, v1
	s_delay_alu instid0(VALU_DEP_3) | instskip(SKIP_1) | instid1(VALU_DEP_4)
	v_add_f32_e32 v11, v18, v14
	v_fma_f32 v14, 0x3df6dbef, v38, -v109
	v_add_f32_e32 v33, v102, v33
	s_delay_alu instid0(VALU_DEP_4) | instskip(SKIP_1) | instid1(VALU_DEP_4)
	v_add_f32_e32 v1, v63, v1
	v_fma_f32 v18, 0xbf788fa5, v36, -v40
	v_add_f32_e32 v11, v14, v11
	v_fma_f32 v14, 0x3f62ad3f, v36, -v111
	v_fmac_f32_e32 v105, 0x3f29c268, v10
	v_fma_f32 v10, 0xbeb58ec6, v26, -v70
	v_add_f32_e32 v31, v35, v31
	v_fma_f32 v35, 0xbeb58ec6, v23, -v54
	s_delay_alu instid0(VALU_DEP_3) | instskip(SKIP_1) | instid1(VALU_DEP_3)
	v_dual_add_f32 v1, v61, v1 :: v_dual_add_f32 v0, v10, v0
	v_fma_f32 v10, 0xbf3f9e67, v38, -v71
	v_add_f32_e32 v31, v35, v31
	v_fma_f32 v35, 0x3f62ad3f, v26, -v95
	s_delay_alu instid0(VALU_DEP_4) | instskip(NEXT) | instid1(VALU_DEP_4)
	v_add_f32_e32 v15, v62, v1
	v_add_f32_e32 v10, v10, v0
	;; [unrolled: 1-line block ×3, first 2 shown]
	s_delay_alu instid0(VALU_DEP_4) | instskip(SKIP_3) | instid1(VALU_DEP_3)
	v_add_f32_e32 v31, v35, v31
	v_fma_f32 v35, 0x3f116cb1, v38, -v97
	v_dual_add_f32 v33, v105, v33 :: v_dual_add_f32 v32, v98, v32
	v_dual_add_f32 v11, v43, v15 :: v_dual_add_f32 v10, v18, v10
	v_add_f32_e32 v31, v35, v31
	v_fma_f32 v35, 0xbf3f9e67, v36, -v103
	s_delay_alu instid0(VALU_DEP_4) | instskip(NEXT) | instid1(VALU_DEP_2)
	v_add_f32_e32 v33, v107, v33
	v_add_f32_e32 v31, v35, v31
	s_delay_alu instid0(VALU_DEP_2)
	v_add_f32_e32 v1, v110, v33
	ds_store_2addr_b64 v56, v[4:5], v[20:21] offset0:169 offset1:170
	ds_store_2addr_b64 v56, v[16:17], v[12:13] offset0:171 offset1:172
	;; [unrolled: 1-line block ×6, first 2 shown]
	ds_store_b64 v56, v[10:11] offset:1448
.LBB0_15:
	s_wait_alu 0xfffe
	s_or_b32 exec_lo, exec_lo, s4
	v_add_nc_u16 v4, v50, 26
	v_mov_b32_e32 v51, 0
	v_add_nc_u16 v5, v50, 39
	global_wb scope:SCOPE_SE
	s_wait_dscnt 0x0
	s_barrier_signal -1
	v_and_b32_e32 v6, 0xff, v4
	v_lshlrev_b64_e32 v[0:1], 3, v[50:51]
	s_barrier_wait -1
	global_inv scope:SCOPE_SE
	v_add_nc_u16 v7, v50, 52
	v_mul_lo_u16 v6, 0x4f, v6
	v_add_nc_u16 v8, v50, 0x41
	v_add_co_u32 v2, s1, s8, v0
	s_wait_alu 0xf1ff
	v_add_co_ci_u32_e64 v3, s1, s9, v1, s1
	v_lshrrev_b16 v6, 10, v6
	v_add_nc_u16 v10, v50, 0x4e
	v_mul_u32_u24_e32 v54, 6, v50
	global_load_b64 v[28:29], v[2:3], off
	v_and_b32_e32 v9, 0xff, v5
	v_mul_lo_u16 v6, v6, 13
	v_and_b32_e32 v13, 0xff, v10
	s_delay_alu instid0(VALU_DEP_3) | instskip(NEXT) | instid1(VALU_DEP_3)
	v_mul_lo_u16 v9, 0x4f, v9
	v_sub_nc_u16 v4, v4, v6
	s_delay_alu instid0(VALU_DEP_3) | instskip(NEXT) | instid1(VALU_DEP_3)
	v_mul_lo_u16 v13, 0x4f, v13
	v_lshrrev_b16 v9, 10, v9
	s_delay_alu instid0(VALU_DEP_3) | instskip(NEXT) | instid1(VALU_DEP_3)
	v_and_b32_e32 v4, 0xff, v4
	v_lshrrev_b16 v13, 10, v13
	s_delay_alu instid0(VALU_DEP_3) | instskip(NEXT) | instid1(VALU_DEP_3)
	v_mul_lo_u16 v9, v9, 13
	v_lshlrev_b32_e32 v44, 3, v4
	s_delay_alu instid0(VALU_DEP_2) | instskip(SKIP_3) | instid1(VALU_DEP_1)
	v_sub_nc_u16 v5, v5, v9
	global_load_b64 v[30:31], v44, s[8:9]
	v_mul_lo_u16 v9, v13, 13
	v_and_b32_e32 v5, 0xff, v5
	v_lshlrev_b32_e32 v45, 3, v5
	global_load_b64 v[32:33], v45, s[8:9]
	v_and_b32_e32 v11, 0xff, v7
	v_and_b32_e32 v12, 0xff, v8
	s_delay_alu instid0(VALU_DEP_2) | instskip(NEXT) | instid1(VALU_DEP_2)
	v_mul_lo_u16 v11, 0x4f, v11
	v_mul_lo_u16 v12, 0x4f, v12
	s_delay_alu instid0(VALU_DEP_2) | instskip(NEXT) | instid1(VALU_DEP_2)
	v_lshrrev_b16 v11, 10, v11
	v_lshrrev_b16 v12, 10, v12
	s_delay_alu instid0(VALU_DEP_2) | instskip(NEXT) | instid1(VALU_DEP_2)
	v_mul_lo_u16 v11, v11, 13
	v_mul_lo_u16 v6, v12, 13
	s_delay_alu instid0(VALU_DEP_2) | instskip(NEXT) | instid1(VALU_DEP_2)
	v_sub_nc_u16 v7, v7, v11
	v_sub_nc_u16 v6, v8, v6
	;; [unrolled: 1-line block ×3, first 2 shown]
	s_delay_alu instid0(VALU_DEP_3) | instskip(NEXT) | instid1(VALU_DEP_3)
	v_and_b32_e32 v7, 0xff, v7
	v_and_b32_e32 v4, 0xff, v6
	s_delay_alu instid0(VALU_DEP_3) | instskip(NEXT) | instid1(VALU_DEP_3)
	v_and_b32_e32 v5, 0xff, v8
	v_lshlrev_b32_e32 v46, 3, v7
	s_delay_alu instid0(VALU_DEP_3) | instskip(NEXT) | instid1(VALU_DEP_3)
	v_lshlrev_b32_e32 v47, 3, v4
	v_lshlrev_b32_e32 v51, 3, v5
	s_clause 0x2
	global_load_b64 v[34:35], v46, s[8:9]
	global_load_b64 v[36:37], v47, s[8:9]
	;; [unrolled: 1-line block ×3, first 2 shown]
	ds_load_2addr_b64 v[4:7], v59 offset0:91 offset1:104
	ds_load_2addr_b64 v[8:11], v59 offset0:13 offset1:26
	;; [unrolled: 1-line block ×3, first 2 shown]
	ds_load_b64 v[40:41], v57
	ds_load_2addr_b64 v[16:19], v59 offset0:39 offset1:52
	ds_load_2addr_b64 v[20:23], v59 offset0:143 offset1:156
	;; [unrolled: 1-line block ×3, first 2 shown]
	ds_load_b64 v[42:43], v59 offset:1352
	global_wb scope:SCOPE_SE
	s_wait_loadcnt_dscnt 0x0
	s_barrier_signal -1
	s_barrier_wait -1
	global_inv scope:SCOPE_SE
	v_mul_f32_e32 v55, v29, v5
	v_mul_f32_e32 v61, v29, v4
	;; [unrolled: 1-line block ×4, first 2 shown]
	s_delay_alu instid0(VALU_DEP_4) | instskip(NEXT) | instid1(VALU_DEP_4)
	v_dual_fmac_f32 v55, v28, v4 :: v_dual_lshlrev_b32 v54, 3, v54
	v_fma_f32 v5, v28, v5, -v61
	s_delay_alu instid0(VALU_DEP_4) | instskip(NEXT) | instid1(VALU_DEP_4)
	v_fmac_f32_e32 v62, v28, v6
	v_fma_f32 v7, v28, v7, -v29
	s_delay_alu instid0(VALU_DEP_3) | instskip(NEXT) | instid1(VALU_DEP_2)
	v_dual_sub_f32 v4, v40, v55 :: v_dual_sub_f32 v5, v41, v5
	v_dual_sub_f32 v6, v8, v62 :: v_dual_sub_f32 v7, v9, v7
	v_add3_u32 v44, 0, v44, v60
	s_delay_alu instid0(VALU_DEP_3) | instskip(NEXT) | instid1(VALU_DEP_4)
	v_fma_f32 v28, v40, 2.0, -v4
	v_fma_f32 v29, v41, 2.0, -v5
	s_delay_alu instid0(VALU_DEP_4)
	v_fma_f32 v8, v8, 2.0, -v6
	v_fma_f32 v9, v9, 2.0, -v7
	ds_store_2addr_b64 v59, v[28:29], v[4:5] offset1:13
	ds_store_2addr_b64 v59, v[8:9], v[6:7] offset0:26 offset1:39
	v_mul_f32_e32 v4, v31, v13
	v_add3_u32 v40, 0, v46, v60
	s_delay_alu instid0(VALU_DEP_2) | instskip(SKIP_1) | instid1(VALU_DEP_2)
	v_fmac_f32_e32 v4, v30, v12
	v_add3_u32 v46, 0, v51, v60
	v_sub_f32_e32 v4, v10, v4
	v_dual_mul_f32 v6, v33, v15 :: v_dual_mul_f32 v5, v31, v12
	v_add3_u32 v45, 0, v45, v60
	s_delay_alu instid0(VALU_DEP_3) | instskip(NEXT) | instid1(VALU_DEP_3)
	v_fma_f32 v10, v10, 2.0, -v4
	v_fmac_f32_e32 v6, v32, v14
	s_delay_alu instid0(VALU_DEP_4) | instskip(NEXT) | instid1(VALU_DEP_2)
	v_fma_f32 v5, v30, v13, -v5
	v_sub_f32_e32 v6, v16, v6
	s_delay_alu instid0(VALU_DEP_1) | instskip(SKIP_3) | instid1(VALU_DEP_3)
	v_fma_f32 v16, v16, 2.0, -v6
	v_mul_f32_e32 v8, v21, v35
	v_dual_mul_f32 v28, v23, v37 :: v_dual_mul_f32 v7, v33, v14
	v_mul_f32_e32 v9, v20, v35
	v_dual_mul_f32 v29, v22, v37 :: v_dual_fmac_f32 v8, v20, v34
	s_delay_alu instid0(VALU_DEP_3)
	v_dual_mul_f32 v31, v43, v39 :: v_dual_fmac_f32 v28, v22, v36
	v_mul_f32_e32 v33, v42, v39
	v_fma_f32 v7, v32, v15, -v7
	v_fma_f32 v9, v21, v34, -v9
	;; [unrolled: 1-line block ×3, first 2 shown]
	v_dual_sub_f32 v12, v24, v28 :: v_dual_fmac_f32 v31, v42, v38
	v_fma_f32 v15, v43, v38, -v33
	v_dual_sub_f32 v5, v11, v5 :: v_dual_sub_f32 v8, v18, v8
	v_sub_f32_e32 v7, v17, v7
	s_delay_alu instid0(VALU_DEP_4)
	v_dual_sub_f32 v9, v19, v9 :: v_dual_sub_f32 v14, v26, v31
	v_sub_f32_e32 v13, v25, v13
	v_sub_f32_e32 v15, v27, v15
	v_fma_f32 v11, v11, 2.0, -v5
	v_fma_f32 v17, v17, 2.0, -v7
	v_fma_f32 v18, v18, 2.0, -v8
	v_fma_f32 v19, v19, 2.0, -v9
	v_add3_u32 v41, 0, v47, v60
	v_fma_f32 v20, v24, 2.0, -v12
	v_fma_f32 v21, v25, 2.0, -v13
	;; [unrolled: 1-line block ×4, first 2 shown]
	ds_store_2addr_b64 v44, v[10:11], v[4:5] offset0:52 offset1:65
	ds_store_2addr_b64 v45, v[16:17], v[6:7] offset0:78 offset1:91
	;; [unrolled: 1-line block ×5, first 2 shown]
	global_wb scope:SCOPE_SE
	s_wait_dscnt 0x0
	s_barrier_signal -1
	s_barrier_wait -1
	global_inv scope:SCOPE_SE
	s_clause 0x5
	global_load_b128 v[4:7], v54, s[8:9] offset:104
	global_load_b128 v[8:11], v54, s[8:9] offset:120
	;; [unrolled: 1-line block ×6, first 2 shown]
	ds_load_2addr_b64 v[28:31], v59 offset0:13 offset1:26
	ds_load_2addr_b64 v[32:35], v59 offset0:39 offset1:52
	;; [unrolled: 1-line block ×6, first 2 shown]
	ds_load_b64 v[54:55], v57
	ds_load_b64 v[64:65], v59 offset:1352
	global_wb scope:SCOPE_SE
	s_wait_loadcnt_dscnt 0x0
	s_barrier_signal -1
	s_barrier_wait -1
	global_inv scope:SCOPE_SE
	v_mul_f32_e32 v66, v7, v35
	v_mul_f32_e32 v68, v11, v43
	;; [unrolled: 1-line block ×3, first 2 shown]
	v_dual_mul_f32 v7, v7, v34 :: v_dual_mul_f32 v72, v37, v19
	v_mul_f32_e32 v74, v45, v23
	v_mul_f32_e32 v69, v13, v47
	;; [unrolled: 1-line block ×3, first 2 shown]
	v_dual_mul_f32 v9, v9, v38 :: v_dual_mul_f32 v70, v63, v15
	v_mul_f32_e32 v51, v5, v31
	v_mul_f32_e32 v5, v5, v30
	v_fmac_f32_e32 v66, v6, v34
	v_fmac_f32_e32 v74, v44, v22
	;; [unrolled: 1-line block ×3, first 2 shown]
	v_mul_f32_e32 v13, v13, v46
	v_fmac_f32_e32 v68, v10, v42
	v_fmac_f32_e32 v70, v62, v14
	;; [unrolled: 1-line block ×3, first 2 shown]
	v_mul_f32_e32 v19, v36, v19
	v_fma_f32 v4, v4, v31, -v5
	v_fma_f32 v5, v6, v35, -v7
	;; [unrolled: 1-line block ×4, first 2 shown]
	v_fmac_f32_e32 v72, v36, v18
	v_fmac_f32_e32 v67, v8, v38
	v_mul_f32_e32 v73, v41, v21
	v_mul_f32_e32 v21, v40, v21
	v_fma_f32 v8, v12, v47, -v13
	v_fma_f32 v11, v37, v18, -v19
	v_mul_f32_e32 v76, v65, v27
	v_mul_f32_e32 v15, v62, v15
	v_fma_f32 v12, v41, v20, -v21
	v_dual_add_f32 v21, v6, v7 :: v_dual_sub_f32 v6, v7, v6
	v_add_f32_e32 v19, v5, v8
	v_sub_f32_e32 v5, v5, v8
	v_add_f32_e32 v8, v67, v68
	v_fmac_f32_e32 v73, v40, v20
	v_mul_f32_e32 v27, v64, v27
	v_dual_mul_f32 v75, v61, v25 :: v_dual_fmac_f32 v76, v64, v26
	v_fma_f32 v9, v63, v14, -v15
	s_delay_alu instid0(VALU_DEP_4) | instskip(SKIP_4) | instid1(VALU_DEP_4)
	v_sub_f32_e32 v30, v74, v73
	v_mul_f32_e32 v71, v33, v17
	v_mul_f32_e32 v17, v32, v17
	v_fma_f32 v15, v65, v26, -v27
	v_dual_sub_f32 v18, v51, v70 :: v_dual_fmac_f32 v75, v60, v24
	v_fmac_f32_e32 v71, v32, v16
	v_mul_f32_e32 v23, v44, v23
	v_fma_f32 v10, v33, v16, -v17
	v_dual_mul_f32 v25, v60, v25 :: v_dual_add_f32 v16, v51, v70
	v_sub_f32_e32 v26, v72, v75
	s_delay_alu instid0(VALU_DEP_2) | instskip(SKIP_2) | instid1(VALU_DEP_4)
	v_fma_f32 v14, v61, v24, -v25
	v_sub_f32_e32 v24, v71, v76
	v_fma_f32 v13, v45, v22, -v23
	v_add_f32_e32 v42, v30, v26
	v_sub_f32_e32 v44, v30, v26
	s_delay_alu instid0(VALU_DEP_4) | instskip(NEXT) | instid1(VALU_DEP_4)
	v_sub_f32_e32 v30, v24, v30
	v_dual_add_f32 v27, v12, v13 :: v_dual_sub_f32 v12, v13, v12
	v_sub_f32_e32 v22, v68, v67
	v_add_f32_e32 v17, v4, v9
	v_sub_f32_e32 v4, v4, v9
	v_add_f32_e32 v9, v66, v69
	v_sub_f32_e32 v26, v26, v24
	v_mul_f32_e32 v44, 0x3f08b237, v44
	v_add_f32_e32 v24, v42, v24
	s_delay_alu instid0(VALU_DEP_4) | instskip(SKIP_4) | instid1(VALU_DEP_4)
	v_sub_f32_e32 v32, v9, v16
	v_dual_sub_f32 v20, v66, v69 :: v_dual_add_f32 v25, v11, v14
	v_sub_f32_e32 v11, v11, v14
	v_add_f32_e32 v13, v9, v16
	v_sub_f32_e32 v16, v16, v8
	v_add_f32_e32 v34, v22, v20
	v_sub_f32_e32 v36, v22, v20
	v_dual_sub_f32 v22, v18, v22 :: v_dual_add_f32 v7, v71, v76
	v_dual_sub_f32 v20, v20, v18 :: v_dual_add_f32 v23, v10, v15
	v_sub_f32_e32 v38, v5, v4
	v_sub_f32_e32 v10, v10, v15
	v_add_f32_e32 v15, v72, v75
	v_add_f32_e32 v43, v12, v11
	v_dual_sub_f32 v41, v25, v23 :: v_dual_add_f32 v18, v34, v18
	s_delay_alu instid0(VALU_DEP_4) | instskip(NEXT) | instid1(VALU_DEP_4)
	v_dual_sub_f32 v45, v12, v11 :: v_dual_sub_f32 v12, v10, v12
	v_sub_f32_e32 v40, v15, v7
	v_dual_add_f32 v14, v73, v74 :: v_dual_sub_f32 v9, v8, v9
	v_add_f32_e32 v35, v6, v5
	v_dual_sub_f32 v37, v6, v5 :: v_dual_sub_f32 v6, v4, v6
	v_dual_add_f32 v31, v19, v17 :: v_dual_mul_f32 v16, 0x3f4a47b2, v16
	v_sub_f32_e32 v33, v19, v17
	v_dual_sub_f32 v19, v21, v19 :: v_dual_add_f32 v8, v8, v13
	v_add_f32_e32 v5, v15, v7
	v_sub_f32_e32 v15, v14, v15
	v_dual_sub_f32 v17, v17, v21 :: v_dual_mul_f32 v46, 0xbf5ff5aa, v38
	v_sub_f32_e32 v11, v11, v10
	v_dual_add_f32 v13, v21, v31 :: v_dual_add_f32 v10, v43, v10
	v_add_f32_e32 v21, v35, v4
	v_mul_f32_e32 v35, 0x3f08b237, v36
	v_mul_f32_e32 v42, 0x3d64c772, v15
	v_dual_mul_f32 v36, 0x3f08b237, v37 :: v_dual_add_f32 v39, v25, v23
	v_dual_sub_f32 v23, v23, v27 :: v_dual_add_f32 v4, v8, v54
	v_dual_mul_f32 v31, 0x3d64c772, v9 :: v_dual_mul_f32 v34, 0x3d64c772, v19
	v_mul_f32_e32 v37, 0xbf5ff5aa, v20
	v_fmamk_f32 v9, v9, 0x3d64c772, v16
	s_delay_alu instid0(VALU_DEP_4) | instskip(SKIP_4) | instid1(VALU_DEP_4)
	v_fmamk_f32 v8, v8, 0xbf955555, v4
	v_mul_f32_e32 v17, 0x3f4a47b2, v17
	v_dual_sub_f32 v7, v7, v14 :: v_dual_add_f32 v14, v14, v5
	v_sub_f32_e32 v25, v27, v25
	v_fma_f32 v31, 0x3f3bfb3b, v32, -v31
	v_fmamk_f32 v19, v19, 0x3d64c772, v17
	v_fma_f32 v34, 0x3f3bfb3b, v33, -v34
	v_fma_f32 v16, 0xbf3bfb3b, v32, -v16
	v_fma_f32 v17, 0xbf3bfb3b, v33, -v17
	v_fmamk_f32 v32, v22, 0xbeae86e6, v35
	v_fmamk_f32 v33, v6, 0xbeae86e6, v36
	v_fma_f32 v20, 0xbf5ff5aa, v20, -v35
	v_fma_f32 v35, 0xbf5ff5aa, v38, -v36
	v_fma_f32 v22, 0x3eae86e6, v22, -v37
	v_fma_f32 v36, 0x3eae86e6, v6, -v46
	v_dual_mul_f32 v23, 0x3f4a47b2, v23 :: v_dual_add_f32 v16, v16, v8
	v_dual_add_f32 v6, v14, v28 :: v_dual_add_f32 v27, v27, v39
	v_mul_f32_e32 v39, 0x3f4a47b2, v7
	v_fma_f32 v28, 0x3f3bfb3b, v40, -v42
	v_mul_f32_e32 v43, 0x3d64c772, v25
	v_dual_fmac_f32 v22, 0xbee1c552, v18 :: v_dual_fmac_f32 v35, 0xbee1c552, v21
	v_fmac_f32_e32 v36, 0xbee1c552, v21
	v_mul_f32_e32 v51, 0xbf5ff5aa, v11
	v_mul_f32_e32 v47, 0xbf5ff5aa, v26
	v_fmamk_f32 v25, v25, 0x3d64c772, v23
	v_fma_f32 v37, 0xbf3bfb3b, v40, -v39
	v_fma_f32 v23, 0xbf3bfb3b, v41, -v23
	v_fmamk_f32 v38, v30, 0xbeae86e6, v44
	v_fma_f32 v26, 0xbf5ff5aa, v26, -v44
	v_add_f32_e32 v7, v27, v29
	v_fma_f32 v29, 0x3f3bfb3b, v41, -v43
	v_fma_f32 v41, 0x3eae86e6, v12, -v51
	v_fmac_f32_e32 v32, 0xbee1c552, v18
	v_fmac_f32_e32 v26, 0xbee1c552, v24
	v_mul_f32_e32 v45, 0x3f08b237, v45
	v_dual_fmac_f32 v20, 0xbee1c552, v18 :: v_dual_add_f32 v5, v13, v55
	v_dual_fmac_f32 v38, 0xbee1c552, v24 :: v_dual_fmac_f32 v41, 0xbee1c552, v10
	v_fmamk_f32 v15, v15, 0x3d64c772, v39
	s_delay_alu instid0(VALU_DEP_4) | instskip(SKIP_4) | instid1(VALU_DEP_1)
	v_fmamk_f32 v39, v12, 0xbeae86e6, v45
	v_fmamk_f32 v12, v14, 0xbf955555, v6
	ds_store_2addr_b64 v59, v[4:5], v[6:7] offset1:13
	v_add_f32_e32 v6, v36, v16
	v_fma_f32 v30, 0x3eae86e6, v30, -v47
	v_dual_fmac_f32 v39, 0xbee1c552, v10 :: v_dual_fmac_f32 v30, 0xbee1c552, v24
	v_add_f32_e32 v24, v28, v12
	v_add_f32_e32 v28, v37, v12
	v_fma_f32 v40, 0xbf5ff5aa, v11, -v45
	s_delay_alu instid0(VALU_DEP_1)
	v_fmac_f32_e32 v40, 0xbee1c552, v10
	v_fmamk_f32 v11, v13, 0xbf955555, v5
	v_fmamk_f32 v13, v27, 0xbf955555, v7
	v_add_f32_e32 v27, v15, v12
	v_sub_f32_e32 v12, v16, v36
	v_add_f32_e32 v14, v9, v8
	v_dual_add_f32 v10, v31, v8 :: v_dual_add_f32 v17, v17, v11
	s_delay_alu instid0(VALU_DEP_4) | instskip(NEXT) | instid1(VALU_DEP_2)
	v_dual_add_f32 v16, v39, v27 :: v_dual_fmac_f32 v33, 0xbee1c552, v21
	v_dual_sub_f32 v8, v10, v35 :: v_dual_sub_f32 v7, v17, v22
	v_add_f32_e32 v10, v35, v10
	s_delay_alu instid0(VALU_DEP_3) | instskip(SKIP_3) | instid1(VALU_DEP_2)
	v_add_f32_e32 v4, v33, v14
	v_sub_f32_e32 v14, v14, v33
	v_add_f32_e32 v18, v19, v11
	v_add_f32_e32 v19, v34, v11
	v_sub_f32_e32 v5, v18, v32
	s_delay_alu instid0(VALU_DEP_2)
	v_add_f32_e32 v9, v20, v19
	v_sub_f32_e32 v11, v19, v20
	v_dual_sub_f32 v20, v24, v40 :: v_dual_add_f32 v31, v25, v13
	v_add_f32_e32 v25, v29, v13
	v_add_f32_e32 v29, v23, v13
	;; [unrolled: 1-line block ×4, first 2 shown]
	v_dual_sub_f32 v17, v31, v38 :: v_dual_add_f32 v18, v41, v28
	s_delay_alu instid0(VALU_DEP_4)
	v_sub_f32_e32 v19, v29, v30
	v_dual_add_f32 v21, v26, v25 :: v_dual_add_f32 v22, v40, v24
	v_dual_sub_f32 v23, v25, v26 :: v_dual_sub_f32 v26, v27, v39
	v_sub_f32_e32 v24, v28, v41
	v_add_f32_e32 v25, v30, v29
	v_add_f32_e32 v27, v38, v31
	ds_store_2addr_b64 v59, v[4:5], v[16:17] offset0:26 offset1:39
	ds_store_2addr_b64 v59, v[6:7], v[18:19] offset0:52 offset1:65
	;; [unrolled: 1-line block ×6, first 2 shown]
	global_wb scope:SCOPE_SE
	s_wait_dscnt 0x0
	s_barrier_signal -1
	s_barrier_wait -1
	global_inv scope:SCOPE_SE
	ds_load_b64 v[6:7], v57
	v_sub_nc_u32_e32 v8, v56, v58
                                        ; implicit-def: $vgpr4
                                        ; implicit-def: $vgpr9
                                        ; implicit-def: $vgpr10
	s_and_saveexec_b32 s1, s0
	s_wait_alu 0xfffe
	s_xor_b32 s0, exec_lo, s1
	s_cbranch_execz .LBB0_17
; %bb.16:
	global_load_b64 v[2:3], v[2:3], off offset:1352
	ds_load_b64 v[4:5], v8 offset:1456
	s_wait_dscnt 0x0
	v_dual_sub_f32 v9, v6, v4 :: v_dual_add_f32 v10, v5, v7
	v_dual_sub_f32 v5, v7, v5 :: v_dual_add_f32 v4, v4, v6
	s_delay_alu instid0(VALU_DEP_2) | instskip(SKIP_1) | instid1(VALU_DEP_1)
	v_dual_mul_f32 v7, 0.5, v9 :: v_dual_mul_f32 v6, 0.5, v10
	s_wait_loadcnt 0x0
	v_dual_mul_f32 v5, 0.5, v5 :: v_dual_mul_f32 v10, v3, v7
	s_delay_alu instid0(VALU_DEP_1) | instskip(SKIP_1) | instid1(VALU_DEP_3)
	v_fma_f32 v11, v6, v3, v5
	v_fma_f32 v3, v6, v3, -v5
	v_fma_f32 v9, 0.5, v4, v10
	v_fma_f32 v4, v4, 0.5, -v10
	s_delay_alu instid0(VALU_DEP_4) | instskip(NEXT) | instid1(VALU_DEP_4)
	v_fma_f32 v10, -v2, v7, v11
	v_fma_f32 v5, -v2, v7, v3
	s_delay_alu instid0(VALU_DEP_4) | instskip(NEXT) | instid1(VALU_DEP_4)
	v_fmac_f32_e32 v9, v2, v6
	v_fma_f32 v4, -v2, v6, v4
                                        ; implicit-def: $vgpr6_vgpr7
.LBB0_17:
	s_wait_alu 0xfffe
	s_and_not1_saveexec_b32 s0, s0
	s_cbranch_execz .LBB0_19
; %bb.18:
	ds_load_b32 v2, v56 offset:732
	s_wait_dscnt 0x1
	v_dual_add_f32 v9, v6, v7 :: v_dual_mov_b32 v10, 0
	v_dual_sub_f32 v4, v6, v7 :: v_dual_mov_b32 v5, 0
	s_wait_dscnt 0x0
	v_xor_b32_e32 v2, 0x80000000, v2
	ds_store_b32 v56, v2 offset:732
.LBB0_19:
	s_wait_alu 0xfffe
	s_or_b32 exec_lo, exec_lo, s0
	s_add_nc_u64 s[0:1], s[8:9], 0x548
	s_wait_alu 0xfffe
	v_add_co_u32 v0, s0, s0, v0
	s_wait_alu 0xf1ff
	v_add_co_ci_u32_e64 v1, s0, s1, v1, s0
	global_load_b64 v[2:3], v[0:1], off offset:104
	s_wait_dscnt 0x0
	s_clause 0x4
	global_load_b64 v[6:7], v[0:1], off offset:208
	global_load_b64 v[11:12], v[0:1], off offset:312
	;; [unrolled: 1-line block ×5, first 2 shown]
	ds_store_2addr_b32 v57, v9, v10 offset1:1
	ds_store_b64 v8, v[4:5] offset:1456
	ds_load_b64 v[4:5], v57 offset:104
	ds_load_b64 v[9:10], v8 offset:1352
	s_wait_dscnt 0x0
	v_dual_sub_f32 v17, v4, v9 :: v_dual_add_f32 v18, v5, v10
	v_dual_sub_f32 v5, v5, v10 :: v_dual_add_f32 v4, v4, v9
	s_delay_alu instid0(VALU_DEP_2) | instskip(NEXT) | instid1(VALU_DEP_2)
	v_dual_mul_f32 v10, 0.5, v17 :: v_dual_mul_f32 v17, 0.5, v18
	v_mul_f32_e32 v5, 0.5, v5
	s_wait_loadcnt 0x5
	s_delay_alu instid0(VALU_DEP_2) | instskip(NEXT) | instid1(VALU_DEP_2)
	v_mul_f32_e32 v9, v3, v10
	v_fma_f32 v18, v17, v3, v5
	v_fma_f32 v3, v17, v3, -v5
	s_delay_alu instid0(VALU_DEP_3) | instskip(SKIP_1) | instid1(VALU_DEP_4)
	v_fma_f32 v5, 0.5, v4, v9
	v_fma_f32 v4, v4, 0.5, -v9
	v_fma_f32 v9, -v2, v10, v18
	s_delay_alu instid0(VALU_DEP_4) | instskip(NEXT) | instid1(VALU_DEP_4)
	v_fma_f32 v3, -v2, v10, v3
	v_fmac_f32_e32 v5, v2, v17
	s_delay_alu instid0(VALU_DEP_4)
	v_fma_f32 v2, -v2, v17, v4
	ds_store_2addr_b32 v57, v5, v9 offset0:26 offset1:27
	ds_store_b64 v8, v[2:3] offset:1352
	ds_load_b64 v[2:3], v57 offset:208
	ds_load_b64 v[4:5], v8 offset:1248
	s_wait_dscnt 0x0
	v_dual_sub_f32 v9, v2, v4 :: v_dual_add_f32 v10, v3, v5
	v_dual_sub_f32 v3, v3, v5 :: v_dual_add_f32 v2, v2, v4
	s_delay_alu instid0(VALU_DEP_2) | instskip(NEXT) | instid1(VALU_DEP_3)
	v_mul_f32_e32 v5, 0.5, v9
	v_mul_f32_e32 v9, 0.5, v10
	s_wait_loadcnt 0x4
	s_delay_alu instid0(VALU_DEP_2) | instskip(NEXT) | instid1(VALU_DEP_1)
	v_dual_mul_f32 v3, 0.5, v3 :: v_dual_mul_f32 v4, v7, v5
	v_fma_f32 v10, v9, v7, v3
	v_fma_f32 v3, v9, v7, -v3
	s_delay_alu instid0(VALU_DEP_3) | instskip(SKIP_1) | instid1(VALU_DEP_4)
	v_fma_f32 v7, 0.5, v2, v4
	v_fma_f32 v2, v2, 0.5, -v4
	v_fma_f32 v4, -v6, v5, v10
	s_delay_alu instid0(VALU_DEP_4) | instskip(NEXT) | instid1(VALU_DEP_4)
	v_fma_f32 v3, -v6, v5, v3
	v_fmac_f32_e32 v7, v6, v9
	s_delay_alu instid0(VALU_DEP_4)
	v_fma_f32 v2, -v6, v9, v2
	ds_store_2addr_b32 v57, v7, v4 offset0:52 offset1:53
	ds_store_b64 v8, v[2:3] offset:1248
	ds_load_b64 v[2:3], v57 offset:312
	ds_load_b64 v[4:5], v8 offset:1144
	s_wait_dscnt 0x0
	v_dual_sub_f32 v6, v2, v4 :: v_dual_add_f32 v7, v3, v5
	v_dual_sub_f32 v3, v3, v5 :: v_dual_add_f32 v2, v2, v4
	s_delay_alu instid0(VALU_DEP_2) | instskip(SKIP_1) | instid1(VALU_DEP_1)
	v_dual_mul_f32 v5, 0.5, v6 :: v_dual_mul_f32 v6, 0.5, v7
	s_wait_loadcnt 0x3
	v_dual_mul_f32 v3, 0.5, v3 :: v_dual_mul_f32 v4, v12, v5
	s_delay_alu instid0(VALU_DEP_1) | instskip(SKIP_1) | instid1(VALU_DEP_3)
	v_fma_f32 v7, v6, v12, v3
	v_fma_f32 v3, v6, v12, -v3
	v_fma_f32 v9, 0.5, v2, v4
	v_fma_f32 v2, v2, 0.5, -v4
	s_delay_alu instid0(VALU_DEP_4) | instskip(NEXT) | instid1(VALU_DEP_4)
	v_fma_f32 v4, -v11, v5, v7
	v_fma_f32 v3, -v11, v5, v3
	s_delay_alu instid0(VALU_DEP_4) | instskip(NEXT) | instid1(VALU_DEP_4)
	v_fmac_f32_e32 v9, v11, v6
	v_fma_f32 v2, -v11, v6, v2
	ds_store_2addr_b32 v57, v9, v4 offset0:78 offset1:79
	ds_store_b64 v8, v[2:3] offset:1144
	ds_load_b64 v[2:3], v57 offset:416
	ds_load_b64 v[4:5], v8 offset:1040
	s_wait_dscnt 0x0
	v_dual_sub_f32 v6, v2, v4 :: v_dual_add_f32 v7, v3, v5
	v_dual_sub_f32 v3, v3, v5 :: v_dual_add_f32 v2, v2, v4
	s_delay_alu instid0(VALU_DEP_2) | instskip(SKIP_1) | instid1(VALU_DEP_1)
	v_dual_mul_f32 v5, 0.5, v6 :: v_dual_mul_f32 v6, 0.5, v7
	s_wait_loadcnt 0x2
	v_dual_mul_f32 v3, 0.5, v3 :: v_dual_mul_f32 v4, v14, v5
	s_delay_alu instid0(VALU_DEP_1) | instskip(SKIP_1) | instid1(VALU_DEP_3)
	v_fma_f32 v7, v6, v14, v3
	v_fma_f32 v3, v6, v14, -v3
	v_fma_f32 v9, 0.5, v2, v4
	v_fma_f32 v2, v2, 0.5, -v4
	s_delay_alu instid0(VALU_DEP_4) | instskip(NEXT) | instid1(VALU_DEP_4)
	v_fma_f32 v4, -v13, v5, v7
	v_fma_f32 v3, -v13, v5, v3
	s_delay_alu instid0(VALU_DEP_4) | instskip(NEXT) | instid1(VALU_DEP_4)
	v_fmac_f32_e32 v9, v13, v6
	v_fma_f32 v2, -v13, v6, v2
	ds_store_2addr_b32 v57, v9, v4 offset0:104 offset1:105
	ds_store_b64 v8, v[2:3] offset:1040
	ds_load_b64 v[2:3], v57 offset:520
	ds_load_b64 v[4:5], v8 offset:936
	s_wait_dscnt 0x0
	v_dual_sub_f32 v6, v2, v4 :: v_dual_add_f32 v7, v3, v5
	v_dual_sub_f32 v3, v3, v5 :: v_dual_add_f32 v2, v2, v4
	s_delay_alu instid0(VALU_DEP_2) | instskip(SKIP_1) | instid1(VALU_DEP_1)
	v_dual_mul_f32 v5, 0.5, v6 :: v_dual_mul_f32 v6, 0.5, v7
	s_wait_loadcnt 0x1
	v_dual_mul_f32 v3, 0.5, v3 :: v_dual_mul_f32 v4, v16, v5
	s_delay_alu instid0(VALU_DEP_1) | instskip(SKIP_1) | instid1(VALU_DEP_3)
	v_fma_f32 v7, v6, v16, v3
	v_fma_f32 v3, v6, v16, -v3
	v_fma_f32 v9, 0.5, v2, v4
	v_fma_f32 v2, v2, 0.5, -v4
	s_delay_alu instid0(VALU_DEP_4) | instskip(NEXT) | instid1(VALU_DEP_4)
	v_fma_f32 v4, -v15, v5, v7
	v_fma_f32 v3, -v15, v5, v3
	s_delay_alu instid0(VALU_DEP_4) | instskip(NEXT) | instid1(VALU_DEP_4)
	v_fmac_f32_e32 v9, v15, v6
	v_fma_f32 v2, -v15, v6, v2
	ds_store_2addr_b32 v57, v9, v4 offset0:130 offset1:131
	ds_store_b64 v8, v[2:3] offset:936
	ds_load_b64 v[2:3], v57 offset:624
	ds_load_b64 v[4:5], v8 offset:832
	s_wait_dscnt 0x0
	v_dual_sub_f32 v6, v2, v4 :: v_dual_add_f32 v7, v3, v5
	v_dual_sub_f32 v3, v3, v5 :: v_dual_add_f32 v2, v2, v4
	s_delay_alu instid0(VALU_DEP_2) | instskip(SKIP_1) | instid1(VALU_DEP_1)
	v_dual_mul_f32 v5, 0.5, v6 :: v_dual_mul_f32 v6, 0.5, v7
	s_wait_loadcnt 0x0
	v_dual_mul_f32 v3, 0.5, v3 :: v_dual_mul_f32 v4, v1, v5
	s_delay_alu instid0(VALU_DEP_1) | instskip(SKIP_1) | instid1(VALU_DEP_3)
	v_fma_f32 v7, v6, v1, v3
	v_fma_f32 v1, v6, v1, -v3
	v_fma_f32 v3, 0.5, v2, v4
	v_fma_f32 v2, v2, 0.5, -v4
	s_delay_alu instid0(VALU_DEP_4) | instskip(NEXT) | instid1(VALU_DEP_4)
	v_fma_f32 v4, -v0, v5, v7
	v_fma_f32 v1, -v0, v5, v1
	s_delay_alu instid0(VALU_DEP_4) | instskip(NEXT) | instid1(VALU_DEP_4)
	v_fmac_f32_e32 v3, v0, v6
	v_fma_f32 v0, -v0, v6, v2
	ds_store_2addr_b32 v57, v3, v4 offset0:156 offset1:157
	ds_store_b64 v8, v[0:1] offset:832
	global_wb scope:SCOPE_SE
	s_wait_dscnt 0x0
	s_barrier_signal -1
	s_barrier_wait -1
	global_inv scope:SCOPE_SE
	s_and_saveexec_b32 s0, vcc_lo
	s_cbranch_execz .LBB0_22
; %bb.20:
	v_mul_lo_u32 v3, s3, v52
	v_mul_lo_u32 v4, s2, v53
	v_mad_co_u64_u32 v[0:1], null, s2, v52, 0
	v_mov_b32_e32 v51, 0
	v_lshlrev_b64_e32 v[11:12], 3, v[48:49]
	v_lshl_add_u32 v2, v50, 3, v56
	v_add_nc_u32_e32 v15, 26, v50
	s_delay_alu instid0(VALU_DEP_4)
	v_dual_mov_b32 v14, v51 :: v_dual_add_nc_u32 v13, 13, v50
	v_add3_u32 v1, v1, v4, v3
	v_lshlrev_b64_e32 v[17:18], 3, v[50:51]
	v_mov_b32_e32 v16, v51
	ds_load_2addr_b64 v[3:6], v2 offset1:13
	ds_load_2addr_b64 v[7:10], v2 offset0:26 offset1:39
	v_lshlrev_b64_e32 v[0:1], 3, v[0:1]
	v_lshlrev_b64_e32 v[13:14], 3, v[13:14]
	v_dual_mov_b32 v20, v51 :: v_dual_add_nc_u32 v19, 52, v50
	v_add_nc_u32_e32 v21, 0x75, v50
	v_add_nc_u32_e32 v25, 0xa9, v50
	v_add_co_u32 v0, vcc_lo, s6, v0
	s_wait_alu 0xfffd
	v_add_co_ci_u32_e32 v1, vcc_lo, s7, v1, vcc_lo
	v_mov_b32_e32 v22, v51
	s_delay_alu instid0(VALU_DEP_3) | instskip(SKIP_1) | instid1(VALU_DEP_3)
	v_add_co_u32 v0, vcc_lo, v0, v11
	s_wait_alu 0xfffd
	v_add_co_ci_u32_e32 v1, vcc_lo, v1, v12, vcc_lo
	v_lshlrev_b64_e32 v[11:12], 3, v[15:16]
	s_delay_alu instid0(VALU_DEP_3) | instskip(SKIP_1) | instid1(VALU_DEP_3)
	v_add_co_u32 v15, vcc_lo, v0, v17
	s_wait_alu 0xfffd
	v_add_co_ci_u32_e32 v16, vcc_lo, v1, v18, vcc_lo
	v_dual_mov_b32 v18, v51 :: v_dual_add_nc_u32 v17, 39, v50
	v_add_co_u32 v13, vcc_lo, v0, v13
	s_wait_alu 0xfffd
	v_add_co_ci_u32_e32 v14, vcc_lo, v1, v14, vcc_lo
	s_delay_alu instid0(VALU_DEP_3) | instskip(SKIP_4) | instid1(VALU_DEP_4)
	v_lshlrev_b64_e32 v[17:18], 3, v[17:18]
	v_add_co_u32 v11, vcc_lo, v0, v11
	s_wait_alu 0xfffd
	v_add_co_ci_u32_e32 v12, vcc_lo, v1, v12, vcc_lo
	v_mov_b32_e32 v26, v51
	v_add_co_u32 v17, vcc_lo, v0, v17
	s_wait_alu 0xfffd
	v_add_co_ci_u32_e32 v18, vcc_lo, v1, v18, vcc_lo
	s_wait_dscnt 0x1
	s_clause 0x1
	global_store_b64 v[15:16], v[3:4], off
	global_store_b64 v[13:14], v[5:6], off
	s_wait_dscnt 0x0
	s_clause 0x1
	global_store_b64 v[11:12], v[7:8], off
	global_store_b64 v[17:18], v[9:10], off
	v_lshlrev_b64_e32 v[7:8], 3, v[19:20]
	v_dual_mov_b32 v10, v51 :: v_dual_add_nc_u32 v9, 0x41, v50
	ds_load_2addr_b64 v[3:6], v2 offset0:52 offset1:65
	v_dual_mov_b32 v12, v51 :: v_dual_add_nc_u32 v11, 0x4e, v50
	v_add_co_u32 v13, vcc_lo, v0, v7
	s_wait_alu 0xfffd
	v_add_co_ci_u32_e32 v14, vcc_lo, v1, v8, vcc_lo
	v_lshlrev_b64_e32 v[15:16], 3, v[9:10]
	ds_load_2addr_b64 v[7:10], v2 offset0:78 offset1:91
	v_dual_mov_b32 v18, v51 :: v_dual_add_nc_u32 v17, 0x5b, v50
	v_lshlrev_b64_e32 v[11:12], 3, v[11:12]
	v_add_nc_u32_e32 v19, 0x68, v50
	v_add_co_u32 v15, vcc_lo, v0, v15
	s_delay_alu instid0(VALU_DEP_4)
	v_lshlrev_b64_e32 v[17:18], 3, v[17:18]
	s_wait_alu 0xfffd
	v_add_co_ci_u32_e32 v16, vcc_lo, v1, v16, vcc_lo
	v_add_co_u32 v11, vcc_lo, v0, v11
	s_wait_alu 0xfffd
	v_add_co_ci_u32_e32 v12, vcc_lo, v1, v12, vcc_lo
	v_add_co_u32 v17, vcc_lo, v0, v17
	s_wait_alu 0xfffd
	v_add_co_ci_u32_e32 v18, vcc_lo, v1, v18, vcc_lo
	v_lshlrev_b64_e32 v[19:20], 3, v[19:20]
	s_wait_dscnt 0x1
	s_clause 0x1
	global_store_b64 v[13:14], v[3:4], off
	global_store_b64 v[15:16], v[5:6], off
	s_wait_dscnt 0x0
	s_clause 0x1
	global_store_b64 v[11:12], v[7:8], off
	global_store_b64 v[17:18], v[9:10], off
	v_dual_mov_b32 v14, v51 :: v_dual_add_nc_u32 v11, 0x82, v50
	v_mov_b32_e32 v12, v51
	v_lshlrev_b64_e32 v[7:8], 3, v[21:22]
	v_add_nc_u32_e32 v13, 0x8f, v50
	v_add_co_u32 v15, vcc_lo, v0, v19
	s_delay_alu instid0(VALU_DEP_4)
	v_lshlrev_b64_e32 v[11:12], 3, v[11:12]
	s_wait_alu 0xfffd
	v_add_co_ci_u32_e32 v16, vcc_lo, v1, v20, vcc_lo
	v_dual_mov_b32 v20, v51 :: v_dual_add_nc_u32 v19, 0x9c, v50
	v_add_co_u32 v17, vcc_lo, v0, v7
	ds_load_2addr_b64 v[3:6], v2 offset0:104 offset1:117
	v_lshlrev_b64_e32 v[23:24], 3, v[13:14]
	s_wait_alu 0xfffd
	v_add_co_ci_u32_e32 v18, vcc_lo, v1, v8, vcc_lo
	ds_load_2addr_b64 v[7:10], v2 offset0:130 offset1:143
	v_add_co_u32 v21, vcc_lo, v0, v11
	v_lshlrev_b64_e32 v[19:20], 3, v[19:20]
	s_wait_alu 0xfffd
	v_add_co_ci_u32_e32 v22, vcc_lo, v1, v12, vcc_lo
	ds_load_2addr_b64 v[11:14], v2 offset0:156 offset1:169
	v_add_co_u32 v23, vcc_lo, v0, v23
	v_lshlrev_b64_e32 v[25:26], 3, v[25:26]
	s_wait_alu 0xfffd
	v_add_co_ci_u32_e32 v24, vcc_lo, v1, v24, vcc_lo
	v_add_co_u32 v19, vcc_lo, v0, v19
	s_wait_alu 0xfffd
	v_add_co_ci_u32_e32 v20, vcc_lo, v1, v20, vcc_lo
	v_add_co_u32 v25, vcc_lo, v0, v25
	s_wait_alu 0xfffd
	v_add_co_ci_u32_e32 v26, vcc_lo, v1, v26, vcc_lo
	v_cmp_eq_u32_e32 vcc_lo, 12, v50
	s_wait_dscnt 0x2
	s_clause 0x1
	global_store_b64 v[15:16], v[3:4], off
	global_store_b64 v[17:18], v[5:6], off
	s_wait_dscnt 0x1
	s_clause 0x1
	global_store_b64 v[21:22], v[7:8], off
	global_store_b64 v[23:24], v[9:10], off
	;; [unrolled: 4-line block ×3, first 2 shown]
	s_and_b32 exec_lo, exec_lo, vcc_lo
	s_cbranch_execz .LBB0_22
; %bb.21:
	ds_load_b64 v[2:3], v2 offset:1360
	s_wait_dscnt 0x0
	global_store_b64 v[0:1], v[2:3], off offset:1456
.LBB0_22:
	s_nop 0
	s_sendmsg sendmsg(MSG_DEALLOC_VGPRS)
	s_endpgm
	.section	.rodata,"a",@progbits
	.p2align	6, 0x0
	.amdhsa_kernel fft_rtc_back_len182_factors_13_2_7_wgs_52_tpt_13_sp_op_CI_CI_unitstride_sbrr_R2C_dirReg
		.amdhsa_group_segment_fixed_size 0
		.amdhsa_private_segment_fixed_size 0
		.amdhsa_kernarg_size 104
		.amdhsa_user_sgpr_count 2
		.amdhsa_user_sgpr_dispatch_ptr 0
		.amdhsa_user_sgpr_queue_ptr 0
		.amdhsa_user_sgpr_kernarg_segment_ptr 1
		.amdhsa_user_sgpr_dispatch_id 0
		.amdhsa_user_sgpr_private_segment_size 0
		.amdhsa_wavefront_size32 1
		.amdhsa_uses_dynamic_stack 0
		.amdhsa_enable_private_segment 0
		.amdhsa_system_sgpr_workgroup_id_x 1
		.amdhsa_system_sgpr_workgroup_id_y 0
		.amdhsa_system_sgpr_workgroup_id_z 0
		.amdhsa_system_sgpr_workgroup_info 0
		.amdhsa_system_vgpr_workitem_id 0
		.amdhsa_next_free_vgpr 114
		.amdhsa_next_free_sgpr 39
		.amdhsa_reserve_vcc 1
		.amdhsa_float_round_mode_32 0
		.amdhsa_float_round_mode_16_64 0
		.amdhsa_float_denorm_mode_32 3
		.amdhsa_float_denorm_mode_16_64 3
		.amdhsa_fp16_overflow 0
		.amdhsa_workgroup_processor_mode 1
		.amdhsa_memory_ordered 1
		.amdhsa_forward_progress 0
		.amdhsa_round_robin_scheduling 0
		.amdhsa_exception_fp_ieee_invalid_op 0
		.amdhsa_exception_fp_denorm_src 0
		.amdhsa_exception_fp_ieee_div_zero 0
		.amdhsa_exception_fp_ieee_overflow 0
		.amdhsa_exception_fp_ieee_underflow 0
		.amdhsa_exception_fp_ieee_inexact 0
		.amdhsa_exception_int_div_zero 0
	.end_amdhsa_kernel
	.text
.Lfunc_end0:
	.size	fft_rtc_back_len182_factors_13_2_7_wgs_52_tpt_13_sp_op_CI_CI_unitstride_sbrr_R2C_dirReg, .Lfunc_end0-fft_rtc_back_len182_factors_13_2_7_wgs_52_tpt_13_sp_op_CI_CI_unitstride_sbrr_R2C_dirReg
                                        ; -- End function
	.section	.AMDGPU.csdata,"",@progbits
; Kernel info:
; codeLenInByte = 12644
; NumSgprs: 41
; NumVgprs: 114
; ScratchSize: 0
; MemoryBound: 0
; FloatMode: 240
; IeeeMode: 1
; LDSByteSize: 0 bytes/workgroup (compile time only)
; SGPRBlocks: 5
; VGPRBlocks: 14
; NumSGPRsForWavesPerEU: 41
; NumVGPRsForWavesPerEU: 114
; Occupancy: 12
; WaveLimiterHint : 1
; COMPUTE_PGM_RSRC2:SCRATCH_EN: 0
; COMPUTE_PGM_RSRC2:USER_SGPR: 2
; COMPUTE_PGM_RSRC2:TRAP_HANDLER: 0
; COMPUTE_PGM_RSRC2:TGID_X_EN: 1
; COMPUTE_PGM_RSRC2:TGID_Y_EN: 0
; COMPUTE_PGM_RSRC2:TGID_Z_EN: 0
; COMPUTE_PGM_RSRC2:TIDIG_COMP_CNT: 0
	.text
	.p2alignl 7, 3214868480
	.fill 96, 4, 3214868480
	.type	__hip_cuid_d52b8e99360b9cbe,@object ; @__hip_cuid_d52b8e99360b9cbe
	.section	.bss,"aw",@nobits
	.globl	__hip_cuid_d52b8e99360b9cbe
__hip_cuid_d52b8e99360b9cbe:
	.byte	0                               ; 0x0
	.size	__hip_cuid_d52b8e99360b9cbe, 1

	.ident	"AMD clang version 19.0.0git (https://github.com/RadeonOpenCompute/llvm-project roc-6.4.0 25133 c7fe45cf4b819c5991fe208aaa96edf142730f1d)"
	.section	".note.GNU-stack","",@progbits
	.addrsig
	.addrsig_sym __hip_cuid_d52b8e99360b9cbe
	.amdgpu_metadata
---
amdhsa.kernels:
  - .args:
      - .actual_access:  read_only
        .address_space:  global
        .offset:         0
        .size:           8
        .value_kind:     global_buffer
      - .offset:         8
        .size:           8
        .value_kind:     by_value
      - .actual_access:  read_only
        .address_space:  global
        .offset:         16
        .size:           8
        .value_kind:     global_buffer
      - .actual_access:  read_only
        .address_space:  global
        .offset:         24
        .size:           8
        .value_kind:     global_buffer
      - .actual_access:  read_only
        .address_space:  global
        .offset:         32
        .size:           8
        .value_kind:     global_buffer
      - .offset:         40
        .size:           8
        .value_kind:     by_value
      - .actual_access:  read_only
        .address_space:  global
        .offset:         48
        .size:           8
        .value_kind:     global_buffer
      - .actual_access:  read_only
        .address_space:  global
        .offset:         56
        .size:           8
        .value_kind:     global_buffer
      - .offset:         64
        .size:           4
        .value_kind:     by_value
      - .actual_access:  read_only
        .address_space:  global
        .offset:         72
        .size:           8
        .value_kind:     global_buffer
      - .actual_access:  read_only
        .address_space:  global
        .offset:         80
        .size:           8
        .value_kind:     global_buffer
      - .actual_access:  read_only
        .address_space:  global
        .offset:         88
        .size:           8
        .value_kind:     global_buffer
      - .actual_access:  write_only
        .address_space:  global
        .offset:         96
        .size:           8
        .value_kind:     global_buffer
    .group_segment_fixed_size: 0
    .kernarg_segment_align: 8
    .kernarg_segment_size: 104
    .language:       OpenCL C
    .language_version:
      - 2
      - 0
    .max_flat_workgroup_size: 52
    .name:           fft_rtc_back_len182_factors_13_2_7_wgs_52_tpt_13_sp_op_CI_CI_unitstride_sbrr_R2C_dirReg
    .private_segment_fixed_size: 0
    .sgpr_count:     41
    .sgpr_spill_count: 0
    .symbol:         fft_rtc_back_len182_factors_13_2_7_wgs_52_tpt_13_sp_op_CI_CI_unitstride_sbrr_R2C_dirReg.kd
    .uniform_work_group_size: 1
    .uses_dynamic_stack: false
    .vgpr_count:     114
    .vgpr_spill_count: 0
    .wavefront_size: 32
    .workgroup_processor_mode: 1
amdhsa.target:   amdgcn-amd-amdhsa--gfx1201
amdhsa.version:
  - 1
  - 2
...

	.end_amdgpu_metadata
